;; amdgpu-corpus repo=ROCm/rocFFT kind=compiled arch=gfx906 opt=O3
	.text
	.amdgcn_target "amdgcn-amd-amdhsa--gfx906"
	.amdhsa_code_object_version 6
	.protected	fft_rtc_back_len3750_factors_3_5_5_10_5_wgs_125_tpt_125_halfLds_sp_ip_CI_unitstride_sbrr_dirReg ; -- Begin function fft_rtc_back_len3750_factors_3_5_5_10_5_wgs_125_tpt_125_halfLds_sp_ip_CI_unitstride_sbrr_dirReg
	.globl	fft_rtc_back_len3750_factors_3_5_5_10_5_wgs_125_tpt_125_halfLds_sp_ip_CI_unitstride_sbrr_dirReg
	.p2align	8
	.type	fft_rtc_back_len3750_factors_3_5_5_10_5_wgs_125_tpt_125_halfLds_sp_ip_CI_unitstride_sbrr_dirReg,@function
fft_rtc_back_len3750_factors_3_5_5_10_5_wgs_125_tpt_125_halfLds_sp_ip_CI_unitstride_sbrr_dirReg: ; @fft_rtc_back_len3750_factors_3_5_5_10_5_wgs_125_tpt_125_halfLds_sp_ip_CI_unitstride_sbrr_dirReg
; %bb.0:
	s_load_dwordx2 s[2:3], s[4:5], 0x50
	s_load_dwordx4 s[8:11], s[4:5], 0x0
	s_load_dwordx2 s[12:13], s[4:5], 0x18
	v_mul_u32_u24_e32 v1, 0x20d, v0
	v_add_u32_sdwa v5, s6, v1 dst_sel:DWORD dst_unused:UNUSED_PAD src0_sel:DWORD src1_sel:WORD_1
	v_mov_b32_e32 v3, 0
	s_waitcnt lgkmcnt(0)
	v_cmp_lt_u64_e64 s[0:1], s[10:11], 2
	v_mov_b32_e32 v1, 0
	v_mov_b32_e32 v6, v3
	s_and_b64 vcc, exec, s[0:1]
	v_mov_b32_e32 v2, 0
	s_cbranch_vccnz .LBB0_8
; %bb.1:
	s_load_dwordx2 s[0:1], s[4:5], 0x10
	s_add_u32 s6, s12, 8
	s_addc_u32 s7, s13, 0
	v_mov_b32_e32 v1, 0
	v_mov_b32_e32 v2, 0
	s_waitcnt lgkmcnt(0)
	s_add_u32 s14, s0, 8
	s_addc_u32 s15, s1, 0
	s_mov_b64 s[16:17], 1
.LBB0_2:                                ; =>This Inner Loop Header: Depth=1
	s_load_dwordx2 s[18:19], s[14:15], 0x0
                                        ; implicit-def: $vgpr7_vgpr8
	s_waitcnt lgkmcnt(0)
	v_or_b32_e32 v4, s19, v6
	v_cmp_ne_u64_e32 vcc, 0, v[3:4]
	s_and_saveexec_b64 s[0:1], vcc
	s_xor_b64 s[20:21], exec, s[0:1]
	s_cbranch_execz .LBB0_4
; %bb.3:                                ;   in Loop: Header=BB0_2 Depth=1
	v_cvt_f32_u32_e32 v4, s18
	v_cvt_f32_u32_e32 v7, s19
	s_sub_u32 s0, 0, s18
	s_subb_u32 s1, 0, s19
	v_mac_f32_e32 v4, 0x4f800000, v7
	v_rcp_f32_e32 v4, v4
	v_mul_f32_e32 v4, 0x5f7ffffc, v4
	v_mul_f32_e32 v7, 0x2f800000, v4
	v_trunc_f32_e32 v7, v7
	v_mac_f32_e32 v4, 0xcf800000, v7
	v_cvt_u32_f32_e32 v7, v7
	v_cvt_u32_f32_e32 v4, v4
	v_mul_lo_u32 v8, s0, v7
	v_mul_hi_u32 v9, s0, v4
	v_mul_lo_u32 v11, s1, v4
	v_mul_lo_u32 v10, s0, v4
	v_add_u32_e32 v8, v9, v8
	v_add_u32_e32 v8, v8, v11
	v_mul_hi_u32 v9, v4, v10
	v_mul_lo_u32 v11, v4, v8
	v_mul_hi_u32 v13, v4, v8
	v_mul_hi_u32 v12, v7, v10
	v_mul_lo_u32 v10, v7, v10
	v_mul_hi_u32 v14, v7, v8
	v_add_co_u32_e32 v9, vcc, v9, v11
	v_addc_co_u32_e32 v11, vcc, 0, v13, vcc
	v_mul_lo_u32 v8, v7, v8
	v_add_co_u32_e32 v9, vcc, v9, v10
	v_addc_co_u32_e32 v9, vcc, v11, v12, vcc
	v_addc_co_u32_e32 v10, vcc, 0, v14, vcc
	v_add_co_u32_e32 v8, vcc, v9, v8
	v_addc_co_u32_e32 v9, vcc, 0, v10, vcc
	v_add_co_u32_e32 v4, vcc, v4, v8
	v_addc_co_u32_e32 v7, vcc, v7, v9, vcc
	v_mul_lo_u32 v8, s0, v7
	v_mul_hi_u32 v9, s0, v4
	v_mul_lo_u32 v10, s1, v4
	v_mul_lo_u32 v11, s0, v4
	v_add_u32_e32 v8, v9, v8
	v_add_u32_e32 v8, v8, v10
	v_mul_lo_u32 v12, v4, v8
	v_mul_hi_u32 v13, v4, v11
	v_mul_hi_u32 v14, v4, v8
	;; [unrolled: 1-line block ×3, first 2 shown]
	v_mul_lo_u32 v11, v7, v11
	v_mul_hi_u32 v9, v7, v8
	v_add_co_u32_e32 v12, vcc, v13, v12
	v_addc_co_u32_e32 v13, vcc, 0, v14, vcc
	v_mul_lo_u32 v8, v7, v8
	v_add_co_u32_e32 v11, vcc, v12, v11
	v_addc_co_u32_e32 v10, vcc, v13, v10, vcc
	v_addc_co_u32_e32 v9, vcc, 0, v9, vcc
	v_add_co_u32_e32 v8, vcc, v10, v8
	v_addc_co_u32_e32 v9, vcc, 0, v9, vcc
	v_add_co_u32_e32 v4, vcc, v4, v8
	v_addc_co_u32_e32 v9, vcc, v7, v9, vcc
	v_mad_u64_u32 v[7:8], s[0:1], v5, v9, 0
	v_mul_hi_u32 v10, v5, v4
	v_add_co_u32_e32 v11, vcc, v10, v7
	v_addc_co_u32_e32 v12, vcc, 0, v8, vcc
	v_mad_u64_u32 v[7:8], s[0:1], v6, v4, 0
	v_mad_u64_u32 v[9:10], s[0:1], v6, v9, 0
	v_add_co_u32_e32 v4, vcc, v11, v7
	v_addc_co_u32_e32 v4, vcc, v12, v8, vcc
	v_addc_co_u32_e32 v7, vcc, 0, v10, vcc
	v_add_co_u32_e32 v4, vcc, v4, v9
	v_addc_co_u32_e32 v9, vcc, 0, v7, vcc
	v_mul_lo_u32 v10, s19, v4
	v_mul_lo_u32 v11, s18, v9
	v_mad_u64_u32 v[7:8], s[0:1], s18, v4, 0
	v_add3_u32 v8, v8, v11, v10
	v_sub_u32_e32 v10, v6, v8
	v_mov_b32_e32 v11, s19
	v_sub_co_u32_e32 v7, vcc, v5, v7
	v_subb_co_u32_e64 v10, s[0:1], v10, v11, vcc
	v_subrev_co_u32_e64 v11, s[0:1], s18, v7
	v_subbrev_co_u32_e64 v10, s[0:1], 0, v10, s[0:1]
	v_cmp_le_u32_e64 s[0:1], s19, v10
	v_cndmask_b32_e64 v12, 0, -1, s[0:1]
	v_cmp_le_u32_e64 s[0:1], s18, v11
	v_cndmask_b32_e64 v11, 0, -1, s[0:1]
	v_cmp_eq_u32_e64 s[0:1], s19, v10
	v_cndmask_b32_e64 v10, v12, v11, s[0:1]
	v_add_co_u32_e64 v11, s[0:1], 2, v4
	v_addc_co_u32_e64 v12, s[0:1], 0, v9, s[0:1]
	v_add_co_u32_e64 v13, s[0:1], 1, v4
	v_addc_co_u32_e64 v14, s[0:1], 0, v9, s[0:1]
	v_subb_co_u32_e32 v8, vcc, v6, v8, vcc
	v_cmp_ne_u32_e64 s[0:1], 0, v10
	v_cmp_le_u32_e32 vcc, s19, v8
	v_cndmask_b32_e64 v10, v14, v12, s[0:1]
	v_cndmask_b32_e64 v12, 0, -1, vcc
	v_cmp_le_u32_e32 vcc, s18, v7
	v_cndmask_b32_e64 v7, 0, -1, vcc
	v_cmp_eq_u32_e32 vcc, s19, v8
	v_cndmask_b32_e32 v7, v12, v7, vcc
	v_cmp_ne_u32_e32 vcc, 0, v7
	v_cndmask_b32_e64 v7, v13, v11, s[0:1]
	v_cndmask_b32_e32 v8, v9, v10, vcc
	v_cndmask_b32_e32 v7, v4, v7, vcc
.LBB0_4:                                ;   in Loop: Header=BB0_2 Depth=1
	s_andn2_saveexec_b64 s[0:1], s[20:21]
	s_cbranch_execz .LBB0_6
; %bb.5:                                ;   in Loop: Header=BB0_2 Depth=1
	v_cvt_f32_u32_e32 v4, s18
	s_sub_i32 s20, 0, s18
	v_rcp_iflag_f32_e32 v4, v4
	v_mul_f32_e32 v4, 0x4f7ffffe, v4
	v_cvt_u32_f32_e32 v4, v4
	v_mul_lo_u32 v7, s20, v4
	v_mul_hi_u32 v7, v4, v7
	v_add_u32_e32 v4, v4, v7
	v_mul_hi_u32 v4, v5, v4
	v_mul_lo_u32 v7, v4, s18
	v_add_u32_e32 v8, 1, v4
	v_sub_u32_e32 v7, v5, v7
	v_subrev_u32_e32 v9, s18, v7
	v_cmp_le_u32_e32 vcc, s18, v7
	v_cndmask_b32_e32 v7, v7, v9, vcc
	v_cndmask_b32_e32 v4, v4, v8, vcc
	v_add_u32_e32 v8, 1, v4
	v_cmp_le_u32_e32 vcc, s18, v7
	v_cndmask_b32_e32 v7, v4, v8, vcc
	v_mov_b32_e32 v8, v3
.LBB0_6:                                ;   in Loop: Header=BB0_2 Depth=1
	s_or_b64 exec, exec, s[0:1]
	v_mul_lo_u32 v4, v8, s18
	v_mul_lo_u32 v11, v7, s19
	v_mad_u64_u32 v[9:10], s[0:1], v7, s18, 0
	s_load_dwordx2 s[0:1], s[6:7], 0x0
	s_add_u32 s16, s16, 1
	v_add3_u32 v4, v10, v11, v4
	v_sub_co_u32_e32 v5, vcc, v5, v9
	v_subb_co_u32_e32 v4, vcc, v6, v4, vcc
	s_waitcnt lgkmcnt(0)
	v_mul_lo_u32 v4, s0, v4
	v_mul_lo_u32 v6, s1, v5
	v_mad_u64_u32 v[1:2], s[0:1], s0, v5, v[1:2]
	s_addc_u32 s17, s17, 0
	s_add_u32 s6, s6, 8
	v_add3_u32 v2, v6, v2, v4
	v_mov_b32_e32 v4, s10
	v_mov_b32_e32 v5, s11
	s_addc_u32 s7, s7, 0
	v_cmp_ge_u64_e32 vcc, s[16:17], v[4:5]
	s_add_u32 s14, s14, 8
	s_addc_u32 s15, s15, 0
	s_cbranch_vccnz .LBB0_9
; %bb.7:                                ;   in Loop: Header=BB0_2 Depth=1
	v_mov_b32_e32 v5, v7
	v_mov_b32_e32 v6, v8
	s_branch .LBB0_2
.LBB0_8:
	v_mov_b32_e32 v8, v6
	v_mov_b32_e32 v7, v5
.LBB0_9:
	s_lshl_b64 s[0:1], s[10:11], 3
	s_add_u32 s0, s12, s0
	s_addc_u32 s1, s13, s1
	s_load_dwordx2 s[6:7], s[0:1], 0x0
	s_load_dwordx2 s[10:11], s[4:5], 0x20
                                        ; implicit-def: $vgpr29
                                        ; implicit-def: $vgpr10
                                        ; implicit-def: $vgpr33
                                        ; implicit-def: $vgpr31
                                        ; implicit-def: $vgpr13
                                        ; implicit-def: $vgpr35
                                        ; implicit-def: $vgpr37
                                        ; implicit-def: $vgpr15
                                        ; implicit-def: $vgpr43
                                        ; implicit-def: $vgpr39
                                        ; implicit-def: $vgpr17
                                        ; implicit-def: $vgpr45
                                        ; implicit-def: $vgpr41
                                        ; implicit-def: $vgpr19
                                        ; implicit-def: $vgpr47
                                        ; implicit-def: $vgpr49
                                        ; implicit-def: $vgpr6
                                        ; implicit-def: $vgpr51
                                        ; implicit-def: $vgpr53
                                        ; implicit-def: $vgpr21
                                        ; implicit-def: $vgpr55
                                        ; implicit-def: $vgpr57
                                        ; implicit-def: $vgpr23
                                        ; implicit-def: $vgpr61
                                        ; implicit-def: $vgpr59
                                        ; implicit-def: $vgpr25
                                        ; implicit-def: $vgpr65
                                        ; implicit-def: $vgpr63
                                        ; implicit-def: $vgpr27
	s_waitcnt lgkmcnt(0)
	v_mad_u64_u32 v[1:2], s[0:1], s6, v7, v[1:2]
	v_mul_lo_u32 v3, s6, v8
	v_mul_lo_u32 v4, s7, v7
	s_mov_b32 s0, 0x20c49bb
	v_mul_hi_u32 v5, v0, s0
	v_cmp_gt_u64_e64 s[0:1], s[10:11], v[7:8]
	v_add3_u32 v2, v4, v2, v3
	v_lshlrev_b64 v[2:3], 3, v[1:2]
	v_mul_u32_u24_e32 v4, 0x7d, v5
	v_sub_u32_e32 v0, v0, v4
                                        ; implicit-def: $vgpr8
	s_and_saveexec_b64 s[4:5], s[0:1]
	s_cbranch_execz .LBB0_11
; %bb.10:
	v_mov_b32_e32 v1, 0
	v_mov_b32_e32 v4, s3
	v_add_co_u32_e32 v6, vcc, s2, v2
	v_addc_co_u32_e32 v8, vcc, v4, v3, vcc
	v_lshlrev_b64 v[4:5], 3, v[0:1]
	s_movk_i32 s6, 0x3000
	v_add_co_u32_e32 v7, vcc, v6, v4
	v_addc_co_u32_e32 v8, vcc, v8, v5, vcc
	v_add_co_u32_e32 v66, vcc, 0x2000, v7
	v_addc_co_u32_e32 v67, vcc, 0, v8, vcc
	;; [unrolled: 2-line block ×5, first 2 shown]
	s_movk_i32 s6, 0x1000
	v_add_co_u32_e32 v28, vcc, s6, v7
	v_addc_co_u32_e32 v29, vcc, 0, v8, vcc
	s_movk_i32 s6, 0x6000
	v_add_co_u32_e32 v72, vcc, s6, v7
	v_addc_co_u32_e32 v73, vcc, 0, v8, vcc
	v_add_co_u32_e32 v74, vcc, 0x7000, v7
	global_load_dwordx2 v[26:27], v[7:8], off
	global_load_dwordx2 v[24:25], v[7:8], off offset:1000
	global_load_dwordx2 v[22:23], v[7:8], off offset:2000
	;; [unrolled: 1-line block ×4, first 2 shown]
	v_addc_co_u32_e32 v75, vcc, 0, v8, vcc
	global_load_dwordx2 v[54:55], v[70:71], off offset:1520
	global_load_dwordx2 v[50:51], v[70:71], off offset:2520
	;; [unrolled: 1-line block ×15, first 2 shown]
                                        ; kill: killed $vgpr9 killed $vgpr10
                                        ; kill: killed $vgpr28 killed $vgpr29
	global_load_dwordx2 v[60:61], v[70:71], off offset:520
	global_load_dwordx2 v[64:65], v[68:69], off offset:3616
	;; [unrolled: 1-line block ×10, first 2 shown]
.LBB0_11:
	s_or_b64 exec, exec, s[4:5]
	s_waitcnt vmcnt(8)
	v_add_f32_e32 v4, v64, v62
	v_add_f32_e32 v1, v62, v26
	v_fmac_f32_e32 v26, -0.5, v4
	v_sub_f32_e32 v4, v63, v65
	v_mov_b32_e32 v11, v26
	v_fmac_f32_e32 v11, 0xbf5db3d7, v4
	v_fmac_f32_e32 v26, 0x3f5db3d7, v4
	v_add_f32_e32 v4, v63, v27
	v_add_f32_e32 v70, v65, v4
	;; [unrolled: 1-line block ×3, first 2 shown]
	v_fmac_f32_e32 v27, -0.5, v4
	v_sub_f32_e32 v4, v62, v64
	v_mov_b32_e32 v63, v27
	v_add_f32_e32 v62, v60, v58
	v_fmac_f32_e32 v63, 0x3f5db3d7, v4
	v_fmac_f32_e32 v27, 0xbf5db3d7, v4
	v_add_f32_e32 v4, v58, v24
	v_fmac_f32_e32 v24, -0.5, v62
	v_sub_f32_e32 v62, v59, v61
	v_mov_b32_e32 v65, v24
	v_fmac_f32_e32 v65, 0xbf5db3d7, v62
	v_fmac_f32_e32 v24, 0x3f5db3d7, v62
	v_add_f32_e32 v62, v59, v25
	v_add_f32_e32 v59, v61, v59
	v_fmac_f32_e32 v25, -0.5, v59
	v_sub_f32_e32 v58, v58, v60
	v_mov_b32_e32 v77, v25
	s_waitcnt vmcnt(7)
	v_add_f32_e32 v59, v54, v56
	v_fmac_f32_e32 v77, 0x3f5db3d7, v58
	v_fmac_f32_e32 v25, 0xbf5db3d7, v58
	v_add_f32_e32 v58, v56, v22
	v_fmac_f32_e32 v22, -0.5, v59
	v_add_f32_e32 v76, v61, v62
	v_sub_f32_e32 v59, v57, v55
	v_mov_b32_e32 v62, v22
	v_fmac_f32_e32 v62, 0xbf5db3d7, v59
	v_fmac_f32_e32 v22, 0x3f5db3d7, v59
	v_add_f32_e32 v59, v57, v23
	v_add_f32_e32 v78, v55, v59
	v_add_f32_e32 v55, v55, v57
	v_fmac_f32_e32 v23, -0.5, v55
	v_add_f32_e32 v58, v54, v58
	v_sub_f32_e32 v54, v56, v54
	v_mov_b32_e32 v80, v23
	v_add_f32_e32 v55, v50, v52
	v_fmac_f32_e32 v80, 0x3f5db3d7, v54
	v_fmac_f32_e32 v23, 0xbf5db3d7, v54
	v_add_f32_e32 v54, v52, v20
	v_fmac_f32_e32 v20, -0.5, v55
	v_sub_f32_e32 v55, v53, v51
	v_mov_b32_e32 v56, v20
	v_fmac_f32_e32 v56, 0xbf5db3d7, v55
	v_fmac_f32_e32 v20, 0x3f5db3d7, v55
	v_add_f32_e32 v55, v53, v21
	v_add_f32_e32 v83, v51, v55
	;; [unrolled: 1-line block ×3, first 2 shown]
	v_fmac_f32_e32 v21, -0.5, v51
	v_add_f32_e32 v54, v50, v54
	v_sub_f32_e32 v50, v52, v50
	v_mov_b32_e32 v85, v21
	v_add_f32_e32 v51, v46, v48
	v_fmac_f32_e32 v85, 0x3f5db3d7, v50
	v_fmac_f32_e32 v21, 0xbf5db3d7, v50
	v_add_f32_e32 v50, v48, v5
	v_fmac_f32_e32 v5, -0.5, v51
	v_sub_f32_e32 v51, v49, v47
	v_mov_b32_e32 v52, v5
	v_fmac_f32_e32 v52, 0xbf5db3d7, v51
	v_fmac_f32_e32 v5, 0x3f5db3d7, v51
	v_add_f32_e32 v51, v49, v6
	v_add_f32_e32 v72, v47, v51
	v_add_f32_e32 v47, v47, v49
	v_fmac_f32_e32 v6, -0.5, v47
	v_add_f32_e32 v50, v46, v50
	v_sub_f32_e32 v46, v48, v46
	v_mov_b32_e32 v73, v6
	s_waitcnt vmcnt(2)
	v_add_f32_e32 v47, v44, v40
	v_fmac_f32_e32 v73, 0x3f5db3d7, v46
	v_fmac_f32_e32 v6, 0xbf5db3d7, v46
	v_add_f32_e32 v46, v40, v18
	v_fmac_f32_e32 v18, -0.5, v47
	v_sub_f32_e32 v47, v41, v45
	v_mov_b32_e32 v48, v18
	v_fmac_f32_e32 v48, 0xbf5db3d7, v47
	v_fmac_f32_e32 v18, 0x3f5db3d7, v47
	v_add_f32_e32 v47, v41, v19
	v_add_f32_e32 v41, v45, v41
	v_fmac_f32_e32 v19, -0.5, v41
	v_sub_f32_e32 v40, v40, v44
	v_mov_b32_e32 v61, v19
	v_add_f32_e32 v41, v42, v38
	v_fmac_f32_e32 v61, 0x3f5db3d7, v40
	v_fmac_f32_e32 v19, 0xbf5db3d7, v40
	v_add_f32_e32 v40, v38, v16
	v_fmac_f32_e32 v16, -0.5, v41
	v_add_f32_e32 v46, v44, v46
	v_sub_f32_e32 v41, v39, v43
	v_mov_b32_e32 v44, v16
	v_fmac_f32_e32 v44, 0xbf5db3d7, v41
	v_fmac_f32_e32 v16, 0x3f5db3d7, v41
	v_add_f32_e32 v41, v39, v17
	v_add_f32_e32 v39, v43, v39
	v_fmac_f32_e32 v17, -0.5, v39
	v_sub_f32_e32 v38, v38, v42
	v_mov_b32_e32 v71, v17
	v_add_f32_e32 v39, v34, v36
	v_fmac_f32_e32 v71, 0x3f5db3d7, v38
	v_fmac_f32_e32 v17, 0xbf5db3d7, v38
	v_add_f32_e32 v38, v36, v14
	v_fmac_f32_e32 v14, -0.5, v39
	v_add_f32_e32 v1, v64, v1
	v_add_f32_e32 v64, v43, v41
	v_sub_f32_e32 v39, v37, v35
	v_mov_b32_e32 v41, v14
	v_fmac_f32_e32 v41, 0xbf5db3d7, v39
	v_fmac_f32_e32 v14, 0x3f5db3d7, v39
	v_add_f32_e32 v39, v37, v15
	v_add_f32_e32 v74, v35, v39
	;; [unrolled: 1-line block ×3, first 2 shown]
	v_fmac_f32_e32 v15, -0.5, v35
	v_add_f32_e32 v38, v34, v38
	v_sub_f32_e32 v34, v36, v34
	v_mov_b32_e32 v75, v15
	s_waitcnt vmcnt(1)
	v_add_f32_e32 v35, v32, v30
	v_fmac_f32_e32 v75, 0x3f5db3d7, v34
	v_fmac_f32_e32 v15, 0xbf5db3d7, v34
	v_add_f32_e32 v34, v30, v12
	v_fmac_f32_e32 v12, -0.5, v35
	v_sub_f32_e32 v35, v31, v33
	v_mov_b32_e32 v36, v12
	v_fmac_f32_e32 v36, 0xbf5db3d7, v35
	v_fmac_f32_e32 v12, 0x3f5db3d7, v35
	v_add_f32_e32 v35, v31, v13
	v_add_f32_e32 v31, v33, v31
	v_mad_u32_u24 v86, v0, 12, 0
	v_add_f32_e32 v4, v60, v4
	v_fmac_f32_e32 v13, -0.5, v31
	ds_write2_b32 v86, v1, v11 offset1:1
	ds_write_b32 v86, v26 offset:8
	v_add_u32_e32 v26, 0x5dc, v86
	v_sub_f32_e32 v30, v30, v32
	v_mov_b32_e32 v81, v13
	s_waitcnt vmcnt(0)
	v_add_f32_e32 v31, v28, v9
	ds_write2_b32 v26, v4, v65 offset1:1
	ds_write_b32 v86, v24 offset:1508
	v_add_u32_e32 v24, 0xbb8, v86
	v_fmac_f32_e32 v81, 0x3f5db3d7, v30
	v_fmac_f32_e32 v13, 0xbf5db3d7, v30
	v_add_f32_e32 v30, v9, v7
	v_fmac_f32_e32 v7, -0.5, v31
	ds_write2_b32 v24, v58, v62 offset1:1
	ds_write_b32 v86, v22 offset:3008
	v_add_u32_e32 v22, 0x1194, v86
	v_add_f32_e32 v34, v32, v34
	v_sub_f32_e32 v31, v10, v29
	v_mov_b32_e32 v32, v7
	ds_write2_b32 v22, v54, v56 offset1:1
	ds_write_b32 v86, v20 offset:4508
	v_add_u32_e32 v20, 0x1770, v86
	v_add_u32_e32 v87, 0x1d50, v86
	v_add_f32_e32 v40, v42, v40
	v_fmac_f32_e32 v32, 0xbf5db3d7, v31
	v_fmac_f32_e32 v7, 0x3f5db3d7, v31
	v_add_f32_e32 v31, v10, v8
	v_add_f32_e32 v10, v29, v10
	ds_write2_b32 v20, v50, v52 offset1:1
	ds_write_b32 v86, v5 offset:6008
	ds_write_b32 v86, v46 offset:7500
	ds_write2_b32 v87, v48, v18 offset1:1
	ds_write_b32 v86, v40 offset:9000
	v_add_u32_e32 v18, 0x232c, v86
	v_fmac_f32_e32 v8, -0.5, v10
	ds_write2_b32 v18, v44, v16 offset1:1
	v_add_u32_e32 v16, 0x2904, v86
	v_lshl_add_u32 v1, v0, 2, 0
	v_add_f32_e32 v30, v28, v30
	v_sub_f32_e32 v9, v9, v28
	v_mov_b32_e32 v84, v8
	ds_write2_b32 v16, v38, v41 offset1:1
	ds_write_b32 v86, v14 offset:10508
	v_add_u32_e32 v14, 0x2ee0, v86
	v_add_u32_e32 v88, 0x34c0, v86
	;; [unrolled: 1-line block ×16, first 2 shown]
	s_movk_i32 s4, 0xab
	v_add_f32_e32 v60, v45, v47
	v_add_f32_e32 v79, v33, v35
	;; [unrolled: 1-line block ×3, first 2 shown]
	v_fmac_f32_e32 v84, 0x3f5db3d7, v9
	v_fmac_f32_e32 v8, 0xbf5db3d7, v9
	ds_write2_b32 v14, v34, v36 offset1:1
	ds_write_b32 v86, v12 offset:12008
	ds_write_b32 v86, v30 offset:13500
	ds_write2_b32 v88, v32, v7 offset1:1
	s_waitcnt lgkmcnt(0)
	s_barrier
	ds_read2_b32 v[11:12], v1 offset1:125
	ds_read2_b32 v[48:49], v57 offset0:110 offset1:235
	ds_read2_b32 v[50:51], v59 offset0:92 offset1:217
	;; [unrolled: 1-line block ×14, first 2 shown]
	s_waitcnt lgkmcnt(0)
	s_barrier
	ds_write2_b32 v86, v70, v63 offset1:1
	ds_write_b32 v86, v27 offset:8
	ds_write2_b32 v26, v76, v77 offset1:1
	ds_write_b32 v86, v25 offset:1508
	;; [unrolled: 2-line block ×5, first 2 shown]
	ds_write_b32 v86, v60 offset:7500
	ds_write2_b32 v87, v61, v19 offset1:1
	ds_write_b32 v86, v64 offset:9000
	ds_write2_b32 v18, v71, v17 offset1:1
	ds_write2_b32 v16, v74, v75 offset1:1
	ds_write_b32 v86, v15 offset:10508
	ds_write2_b32 v14, v79, v81 offset1:1
	ds_write_b32 v86, v13 offset:12008
	ds_write_b32 v86, v82 offset:13500
	ds_write2_b32 v88, v84, v8 offset1:1
	v_mul_lo_u16_sdwa v6, v0, s4 dst_sel:DWORD dst_unused:UNUSED_PAD src0_sel:BYTE_0 src1_sel:DWORD
	v_lshrrev_b16_e32 v19, 9, v6
	v_mul_lo_u16_e32 v6, 3, v19
	v_sub_u16_e32 v27, v0, v6
	v_mov_b32_e32 v71, 5
	v_lshlrev_b32_sdwa v7, v71, v27 dst_sel:DWORD dst_unused:UNUSED_PAD src0_sel:DWORD src1_sel:BYTE_0
	s_waitcnt lgkmcnt(0)
	s_barrier
	global_load_dwordx4 v[21:24], v7, s[8:9]
	v_add_u32_e32 v63, 0x7d, v0
	v_mul_lo_u16_sdwa v6, v63, s4 dst_sel:DWORD dst_unused:UNUSED_PAD src0_sel:BYTE_0 src1_sel:DWORD
	v_lshrrev_b16_e32 v6, 9, v6
	v_mul_lo_u16_e32 v8, 3, v6
	v_sub_u16_e32 v114, v63, v8
	v_lshlrev_b32_sdwa v8, v71, v114 dst_sel:DWORD dst_unused:UNUSED_PAD src0_sel:DWORD src1_sel:BYTE_0
	global_load_dwordx4 v[72:75], v8, s[8:9]
	global_load_dwordx4 v[76:79], v7, s[8:9] offset:16
	global_load_dwordx4 v[80:83], v8, s[8:9] offset:16
	v_add_u32_e32 v64, 0xfa, v0
	s_mov_b32 s4, 0xaaab
	v_add_u32_e32 v70, 0x177, v0
	v_mul_u32_u24_sdwa v7, v64, s4 dst_sel:DWORD dst_unused:UNUSED_PAD src0_sel:WORD_0 src1_sel:DWORD
	v_mul_u32_u24_sdwa v8, v70, s4 dst_sel:DWORD dst_unused:UNUSED_PAD src0_sel:WORD_0 src1_sel:DWORD
	v_lshrrev_b32_e32 v20, 17, v7
	v_lshrrev_b32_e32 v17, 17, v8
	v_mul_lo_u16_e32 v7, 3, v20
	v_mul_lo_u16_e32 v8, 3, v17
	v_sub_u16_e32 v115, v64, v7
	v_sub_u16_e32 v116, v70, v8
	v_lshlrev_b32_e32 v7, 5, v115
	v_lshlrev_b32_e32 v8, 5, v116
	global_load_dwordx4 v[84:87], v7, s[8:9]
	global_load_dwordx4 v[88:91], v8, s[8:9]
	global_load_dwordx4 v[92:95], v7, s[8:9] offset:16
	global_load_dwordx4 v[96:99], v8, s[8:9] offset:16
	v_add_u32_e32 v61, 0x1f4, v0
	ds_read2_b32 v[15:16], v1 offset1:125
	ds_read2_b32 v[13:14], v57 offset0:110 offset1:235
	ds_read2_b32 v[25:26], v59 offset0:92 offset1:217
	;; [unrolled: 1-line block ×6, first 2 shown]
	v_add_u32_e32 v60, 0x271, v0
	v_mul_u32_u24_e32 v19, 60, v19
	v_mul_u32_u24_e32 v6, 60, v6
	s_movk_i32 s5, 0x4a
	s_waitcnt vmcnt(7)
	v_mul_f32_e32 v18, v48, v22
	s_waitcnt lgkmcnt(5)
	v_mul_f32_e32 v117, v13, v22
	v_fma_f32 v118, v13, v21, -v18
	v_mul_u32_u24_sdwa v13, v61, s4 dst_sel:DWORD dst_unused:UNUSED_PAD src0_sel:WORD_0 src1_sel:DWORD
	v_fmac_f32_e32 v117, v48, v21
	v_lshrrev_b32_e32 v21, 17, v13
	v_mul_lo_u16_e32 v13, 3, v21
	v_sub_u16_e32 v120, v61, v13
	v_lshlrev_b32_e32 v13, 5, v120
	global_load_dwordx4 v[100:103], v13, s[8:9] offset:16
	global_load_dwordx4 v[104:107], v13, s[8:9]
	v_mul_f32_e32 v13, v50, v24
	s_waitcnt lgkmcnt(4)
	v_fma_f32 v121, v25, v23, -v13
	s_waitcnt vmcnt(8)
	v_mul_f32_e32 v13, v49, v73
	v_fma_f32 v123, v14, v72, -v13
	v_mul_f32_e32 v13, v51, v75
	v_fma_f32 v125, v26, v74, -v13
	v_mul_u32_u24_sdwa v13, v60, s4 dst_sel:DWORD dst_unused:UNUSED_PAD src0_sel:WORD_0 src1_sel:DWORD
	v_lshrrev_b32_e32 v18, 17, v13
	v_mul_lo_u16_e32 v13, 3, v18
	v_sub_u16_e32 v126, v60, v13
	v_mul_f32_e32 v119, v25, v24
	v_mul_f32_e32 v122, v14, v73
	;; [unrolled: 1-line block ×3, first 2 shown]
	v_lshlrev_b32_e32 v13, 5, v126
	v_fmac_f32_e32 v119, v50, v23
	v_fmac_f32_e32 v122, v49, v72
	;; [unrolled: 1-line block ×3, first 2 shown]
	global_load_dwordx4 v[48:51], v13, s[8:9] offset:16
	global_load_dwordx4 v[72:75], v13, s[8:9]
	s_waitcnt vmcnt(9) lgkmcnt(3)
	v_mul_f32_e32 v127, v108, v77
	v_mul_f32_e32 v13, v46, v77
	v_fmac_f32_e32 v127, v46, v76
	v_fma_f32 v108, v108, v76, -v13
	ds_read2_b32 v[22:23], v62 offset0:86 offset1:211
	ds_read2_b32 v[76:77], v55 offset0:68 offset1:193
	v_mul_f32_e32 v13, v44, v79
	s_waitcnt vmcnt(8)
	v_mul_f32_e32 v129, v109, v81
	s_waitcnt vmcnt(7)
	v_mul_f32_e32 v24, v42, v85
	s_waitcnt lgkmcnt(4)
	v_mul_f32_e32 v128, v110, v79
	v_fma_f32 v110, v110, v78, -v13
	v_fmac_f32_e32 v129, v47, v80
	v_mul_f32_e32 v13, v47, v81
	ds_read2_b32 v[46:47], v53 offset0:50 offset1:175
	s_waitcnt lgkmcnt(3)
	v_mul_f32_e32 v131, v112, v85
	v_fma_f32 v112, v112, v84, -v24
	s_waitcnt lgkmcnt(2)
	v_mul_f32_e32 v132, v22, v87
	v_mul_f32_e32 v24, v40, v87
	v_fmac_f32_e32 v132, v40, v86
	v_fma_f32 v86, v22, v86, -v24
	s_waitcnt vmcnt(6)
	v_mul_f32_e32 v22, v43, v89
	v_fma_f32 v109, v109, v80, -v13
	v_mul_f32_e32 v130, v111, v83
	v_mul_f32_e32 v13, v45, v83
	;; [unrolled: 1-line block ×3, first 2 shown]
	v_fma_f32 v113, v113, v88, -v22
	v_mul_f32_e32 v134, v23, v91
	v_mul_f32_e32 v22, v41, v91
	v_fmac_f32_e32 v128, v44, v78
	v_fmac_f32_e32 v130, v45, v82
	v_fma_f32 v111, v111, v82, -v13
	ds_read2_b32 v[13:14], v65 offset0:116 offset1:241
	ds_read2_b32 v[44:45], v66 offset0:98 offset1:223
	;; [unrolled: 1-line block ×3, first 2 shown]
	v_fmac_f32_e32 v134, v41, v90
	v_fma_f32 v135, v23, v90, -v22
	s_waitcnt vmcnt(5) lgkmcnt(4)
	v_mul_f32_e32 v90, v76, v93
	v_mul_f32_e32 v22, v36, v93
	ds_read2_b32 v[80:81], v67 offset0:62 offset1:187
	v_fmac_f32_e32 v90, v36, v92
	v_fma_f32 v36, v76, v92, -v22
	v_mul_f32_e32 v22, v38, v95
	v_fmac_f32_e32 v131, v42, v84
	v_fmac_f32_e32 v133, v43, v88
	ds_read2_b32 v[40:41], v68 offset0:44 offset1:169
	v_mov_b32_e32 v42, 2
	s_waitcnt lgkmcnt(5)
	v_mul_f32_e32 v43, v46, v95
	v_fma_f32 v46, v46, v94, -v22
	s_waitcnt vmcnt(4)
	v_mul_f32_e32 v22, v37, v97
	v_lshlrev_b32_sdwa v26, v42, v114 dst_sel:DWORD dst_unused:UNUSED_PAD src0_sel:DWORD src1_sel:BYTE_0
	v_mul_f32_e32 v76, v77, v97
	v_fma_f32 v97, v77, v96, -v22
	v_mul_f32_e32 v114, v47, v99
	v_mul_f32_e32 v22, v39, v99
	v_fmac_f32_e32 v114, v39, v98
	v_fma_f32 v47, v47, v98, -v22
	v_lshlrev_b32_sdwa v85, v42, v27 dst_sel:DWORD dst_unused:UNUSED_PAD src0_sel:DWORD src1_sel:BYTE_0
	v_lshlrev_b32_e32 v24, 2, v116
	v_lshlrev_b32_e32 v23, 2, v120
	;; [unrolled: 1-line block ×3, first 2 shown]
	v_fmac_f32_e32 v43, v38, v94
	v_fmac_f32_e32 v76, v37, v96
	s_waitcnt vmcnt(2) lgkmcnt(0)
	v_mul_f32_e32 v98, v44, v105
	v_mul_f32_e32 v22, v32, v105
	v_fmac_f32_e32 v98, v32, v104
	v_fma_f32 v32, v44, v104, -v22
	v_mul_f32_e32 v22, v30, v107
	v_fma_f32 v104, v78, v106, -v22
	v_mul_f32_e32 v105, v80, v101
	v_mul_f32_e32 v22, v28, v101
	v_fmac_f32_e32 v105, v28, v100
	v_fma_f32 v100, v80, v100, -v22
	v_mul_f32_e32 v101, v40, v103
	v_mul_f32_e32 v22, v34, v103
	;; [unrolled: 1-line block ×3, first 2 shown]
	v_fmac_f32_e32 v99, v30, v106
	v_sub_f32_e32 v28, v118, v110
	v_sub_f32_e32 v30, v117, v119
	v_fmac_f32_e32 v101, v34, v102
	s_waitcnt vmcnt(1)
	v_mul_f32_e32 v115, v81, v49
	s_waitcnt vmcnt(0)
	v_mul_f32_e32 v27, v33, v73
	v_fma_f32 v103, v45, v72, -v27
	v_mul_f32_e32 v27, v31, v75
	v_fma_f32 v107, v79, v74, -v27
	;; [unrolled: 2-line block ×4, first 2 shown]
	v_add_f32_e32 v27, v11, v117
	v_add_f32_e32 v27, v27, v119
	v_add_f32_e32 v27, v27, v127
	v_add_f32_e32 v87, v27, v128
	v_add_f32_e32 v27, v119, v127
	v_fma_f32 v27, -0.5, v27, v11
	v_mul_f32_e32 v106, v79, v75
	v_mov_b32_e32 v88, v27
	v_fmac_f32_e32 v106, v31, v74
	v_fmac_f32_e32 v115, v29, v48
	;; [unrolled: 1-line block ×3, first 2 shown]
	v_sub_f32_e32 v29, v121, v108
	v_sub_f32_e32 v31, v128, v127
	v_fmac_f32_e32 v27, 0x3f737871, v28
	v_fmac_f32_e32 v88, 0xbf167918, v29
	v_add_f32_e32 v30, v30, v31
	v_fmac_f32_e32 v27, 0x3f167918, v29
	v_fmac_f32_e32 v88, 0x3e9e377a, v30
	;; [unrolled: 1-line block ×3, first 2 shown]
	v_add_f32_e32 v30, v117, v128
	v_fma_f32 v93, -0.5, v30, v11
	v_mov_b32_e32 v94, v93
	v_fmac_f32_e32 v94, 0x3f737871, v29
	v_sub_f32_e32 v11, v119, v117
	v_sub_f32_e32 v30, v127, v128
	v_fmac_f32_e32 v93, 0xbf737871, v29
	v_fmac_f32_e32 v94, 0xbf167918, v28
	v_add_f32_e32 v11, v11, v30
	v_fmac_f32_e32 v93, 0x3f167918, v28
	v_fmac_f32_e32 v94, 0x3e9e377a, v11
	;; [unrolled: 1-line block ×3, first 2 shown]
	v_add_f32_e32 v11, v15, v118
	v_add_f32_e32 v11, v11, v121
	;; [unrolled: 1-line block ×5, first 2 shown]
	v_fma_f32 v77, -0.5, v11, v15
	v_sub_f32_e32 v11, v117, v128
	v_mov_b32_e32 v81, v77
	v_fmac_f32_e32 v81, 0x3f737871, v11
	v_sub_f32_e32 v28, v119, v127
	v_sub_f32_e32 v29, v118, v121
	;; [unrolled: 1-line block ×3, first 2 shown]
	v_fmac_f32_e32 v77, 0xbf737871, v11
	v_fmac_f32_e32 v81, 0x3f167918, v28
	v_add_f32_e32 v29, v29, v30
	v_fmac_f32_e32 v77, 0xbf167918, v28
	v_fmac_f32_e32 v81, 0x3e9e377a, v29
	;; [unrolled: 1-line block ×3, first 2 shown]
	v_add_f32_e32 v29, v118, v110
	v_fma_f32 v78, -0.5, v29, v15
	v_mov_b32_e32 v79, v78
	v_fmac_f32_e32 v79, 0xbf737871, v28
	v_fmac_f32_e32 v78, 0x3f737871, v28
	;; [unrolled: 1-line block ×4, first 2 shown]
	v_add_f32_e32 v11, v12, v122
	v_add_f32_e32 v11, v11, v124
	;; [unrolled: 1-line block ×3, first 2 shown]
	v_sub_f32_e32 v15, v121, v118
	v_sub_f32_e32 v29, v108, v110
	v_add_f32_e32 v92, v11, v130
	v_add_f32_e32 v11, v124, v129
	;; [unrolled: 1-line block ×3, first 2 shown]
	v_fma_f32 v29, -0.5, v11, v12
	v_sub_f32_e32 v11, v123, v111
	v_mov_b32_e32 v95, v29
	v_fmac_f32_e32 v79, 0x3e9e377a, v15
	v_fmac_f32_e32 v78, 0x3e9e377a, v15
	;; [unrolled: 1-line block ×3, first 2 shown]
	v_sub_f32_e32 v15, v125, v109
	v_sub_f32_e32 v28, v122, v124
	;; [unrolled: 1-line block ×3, first 2 shown]
	v_fmac_f32_e32 v29, 0x3f737871, v11
	v_fmac_f32_e32 v95, 0xbf167918, v15
	v_add_f32_e32 v28, v28, v30
	v_fmac_f32_e32 v29, 0x3f167918, v15
	v_fmac_f32_e32 v95, 0x3e9e377a, v28
	;; [unrolled: 1-line block ×3, first 2 shown]
	v_add_f32_e32 v28, v122, v130
	v_fmac_f32_e32 v12, -0.5, v28
	v_mov_b32_e32 v96, v12
	v_fmac_f32_e32 v96, 0x3f737871, v15
	v_fmac_f32_e32 v12, 0xbf737871, v15
	;; [unrolled: 1-line block ×4, first 2 shown]
	v_add_f32_e32 v11, v16, v123
	v_add_f32_e32 v11, v11, v125
	;; [unrolled: 1-line block ×5, first 2 shown]
	v_sub_f32_e32 v28, v124, v122
	v_sub_f32_e32 v30, v129, v130
	v_fma_f32 v75, -0.5, v11, v16
	v_add_f32_e32 v28, v28, v30
	v_sub_f32_e32 v11, v122, v130
	v_mov_b32_e32 v84, v75
	v_fmac_f32_e32 v96, 0x3e9e377a, v28
	v_fmac_f32_e32 v12, 0x3e9e377a, v28
	;; [unrolled: 1-line block ×3, first 2 shown]
	v_sub_f32_e32 v15, v124, v129
	v_sub_f32_e32 v28, v123, v125
	;; [unrolled: 1-line block ×3, first 2 shown]
	v_fmac_f32_e32 v75, 0xbf737871, v11
	v_fmac_f32_e32 v84, 0x3f167918, v15
	v_add_f32_e32 v28, v28, v30
	v_fmac_f32_e32 v75, 0xbf167918, v15
	v_fmac_f32_e32 v84, 0x3e9e377a, v28
	;; [unrolled: 1-line block ×3, first 2 shown]
	v_add_f32_e32 v28, v123, v111
	v_fmac_f32_e32 v16, -0.5, v28
	v_mov_b32_e32 v82, v16
	v_fmac_f32_e32 v82, 0xbf737871, v15
	v_fmac_f32_e32 v16, 0x3f737871, v15
	;; [unrolled: 1-line block ×4, first 2 shown]
	v_add_f32_e32 v11, v9, v131
	v_add_f32_e32 v11, v11, v132
	;; [unrolled: 1-line block ×5, first 2 shown]
	v_sub_f32_e32 v28, v125, v123
	v_sub_f32_e32 v30, v109, v111
	v_fma_f32 v11, -0.5, v11, v9
	v_add_f32_e32 v28, v28, v30
	v_sub_f32_e32 v15, v112, v46
	v_mov_b32_e32 v91, v11
	v_fmac_f32_e32 v82, 0x3e9e377a, v28
	v_fmac_f32_e32 v16, 0x3e9e377a, v28
	;; [unrolled: 1-line block ×3, first 2 shown]
	v_sub_f32_e32 v28, v86, v36
	v_sub_f32_e32 v30, v131, v132
	;; [unrolled: 1-line block ×3, first 2 shown]
	v_fmac_f32_e32 v11, 0x3f737871, v15
	v_fmac_f32_e32 v91, 0xbf167918, v28
	v_add_f32_e32 v30, v30, v31
	v_fmac_f32_e32 v11, 0x3f167918, v28
	v_fmac_f32_e32 v91, 0x3e9e377a, v30
	v_fmac_f32_e32 v11, 0x3e9e377a, v30
	v_add_f32_e32 v30, v131, v43
	v_fma_f32 v37, -0.5, v30, v9
	v_mov_b32_e32 v38, v37
	v_fmac_f32_e32 v38, 0x3f737871, v28
	v_sub_f32_e32 v9, v132, v131
	v_sub_f32_e32 v30, v90, v43
	v_fmac_f32_e32 v37, 0xbf737871, v28
	v_fmac_f32_e32 v38, 0xbf167918, v15
	v_add_f32_e32 v9, v9, v30
	v_fmac_f32_e32 v37, 0x3f167918, v15
	v_fmac_f32_e32 v38, 0x3e9e377a, v9
	;; [unrolled: 1-line block ×3, first 2 shown]
	v_add_f32_e32 v9, v7, v112
	v_add_f32_e32 v9, v9, v86
	v_add_f32_e32 v9, v9, v36
	v_fma_f32 v34, v40, v102, -v22
	v_add_f32_e32 v40, v9, v46
	v_add_f32_e32 v9, v86, v36
	v_fma_f32 v39, -0.5, v9, v7
	v_sub_f32_e32 v9, v131, v43
	v_mov_b32_e32 v43, v39
	v_fmac_f32_e32 v43, 0x3f737871, v9
	v_sub_f32_e32 v15, v132, v90
	v_sub_f32_e32 v28, v112, v86
	;; [unrolled: 1-line block ×3, first 2 shown]
	v_fmac_f32_e32 v39, 0xbf737871, v9
	v_fmac_f32_e32 v43, 0x3f167918, v15
	v_add_f32_e32 v28, v28, v30
	v_fmac_f32_e32 v39, 0xbf167918, v15
	v_fmac_f32_e32 v43, 0x3e9e377a, v28
	;; [unrolled: 1-line block ×3, first 2 shown]
	v_add_f32_e32 v28, v112, v46
	v_mul_f32_e32 v74, v41, v51
	v_fma_f32 v41, -0.5, v28, v7
	v_mov_b32_e32 v44, v41
	v_fmac_f32_e32 v44, 0xbf737871, v15
	v_sub_f32_e32 v7, v86, v112
	v_sub_f32_e32 v28, v36, v46
	v_fmac_f32_e32 v41, 0x3f737871, v15
	v_fmac_f32_e32 v44, 0x3f167918, v9
	v_add_f32_e32 v7, v7, v28
	v_fmac_f32_e32 v41, 0xbf167918, v9
	v_fmac_f32_e32 v44, 0x3e9e377a, v7
	;; [unrolled: 1-line block ×3, first 2 shown]
	v_add_f32_e32 v7, v10, v133
	v_add_f32_e32 v7, v7, v134
	;; [unrolled: 1-line block ×5, first 2 shown]
	v_fma_f32 v28, -0.5, v7, v10
	v_sub_f32_e32 v7, v113, v47
	v_mov_b32_e32 v86, v28
	v_fmac_f32_e32 v86, 0xbf737871, v7
	v_sub_f32_e32 v9, v135, v97
	v_sub_f32_e32 v15, v133, v134
	;; [unrolled: 1-line block ×3, first 2 shown]
	v_fmac_f32_e32 v28, 0x3f737871, v7
	v_fmac_f32_e32 v86, 0xbf167918, v9
	v_add_f32_e32 v15, v15, v30
	v_fmac_f32_e32 v28, 0x3f167918, v9
	v_fmac_f32_e32 v86, 0x3e9e377a, v15
	;; [unrolled: 1-line block ×3, first 2 shown]
	v_add_f32_e32 v15, v133, v114
	v_fmac_f32_e32 v10, -0.5, v15
	v_mov_b32_e32 v90, v10
	v_fmac_f32_e32 v90, 0x3f737871, v9
	v_fmac_f32_e32 v10, 0xbf737871, v9
	;; [unrolled: 1-line block ×4, first 2 shown]
	v_add_f32_e32 v7, v8, v113
	v_add_f32_e32 v7, v7, v135
	;; [unrolled: 1-line block ×3, first 2 shown]
	v_fmac_f32_e32 v74, v35, v50
	v_add_f32_e32 v50, v7, v47
	v_add_f32_e32 v7, v135, v97
	v_sub_f32_e32 v15, v134, v133
	v_sub_f32_e32 v30, v76, v114
	v_fma_f32 v9, -0.5, v7, v8
	v_add_f32_e32 v15, v15, v30
	v_sub_f32_e32 v7, v133, v114
	v_mov_b32_e32 v51, v9
	v_fmac_f32_e32 v90, 0x3e9e377a, v15
	v_fmac_f32_e32 v10, 0x3e9e377a, v15
	;; [unrolled: 1-line block ×3, first 2 shown]
	v_sub_f32_e32 v30, v134, v76
	v_sub_f32_e32 v15, v113, v135
	;; [unrolled: 1-line block ×3, first 2 shown]
	v_fmac_f32_e32 v9, 0xbf737871, v7
	v_fmac_f32_e32 v51, 0x3f167918, v30
	v_add_f32_e32 v15, v15, v31
	v_fmac_f32_e32 v9, 0xbf167918, v30
	v_fmac_f32_e32 v51, 0x3e9e377a, v15
	v_fmac_f32_e32 v9, 0x3e9e377a, v15
	v_add_f32_e32 v15, v113, v47
	v_fmac_f32_e32 v8, -0.5, v15
	v_mov_b32_e32 v15, v8
	v_fmac_f32_e32 v15, 0xbf737871, v30
	v_fmac_f32_e32 v8, 0x3f737871, v30
	;; [unrolled: 1-line block ×4, first 2 shown]
	v_add_f32_e32 v7, v4, v98
	v_mul_f32_e32 v102, v45, v73
	v_add_f32_e32 v7, v7, v99
	v_fmac_f32_e32 v102, v33, v72
	v_sub_f32_e32 v31, v135, v113
	v_sub_f32_e32 v33, v97, v47
	v_add_f32_e32 v7, v7, v105
	v_add_f32_e32 v31, v31, v33
	;; [unrolled: 1-line block ×4, first 2 shown]
	v_fma_f32 v7, -0.5, v7, v4
	v_sub_f32_e32 v45, v32, v34
	v_mov_b32_e32 v35, v7
	v_fmac_f32_e32 v15, 0x3e9e377a, v31
	v_fmac_f32_e32 v8, 0x3e9e377a, v31
	;; [unrolled: 1-line block ×3, first 2 shown]
	v_sub_f32_e32 v46, v104, v100
	v_sub_f32_e32 v30, v98, v99
	;; [unrolled: 1-line block ×3, first 2 shown]
	v_fmac_f32_e32 v7, 0x3f737871, v45
	v_fmac_f32_e32 v35, 0xbf167918, v46
	v_add_f32_e32 v30, v30, v31
	v_fmac_f32_e32 v7, 0x3f167918, v46
	v_fmac_f32_e32 v35, 0x3e9e377a, v30
	;; [unrolled: 1-line block ×3, first 2 shown]
	v_add_f32_e32 v30, v98, v101
	v_fma_f32 v30, -0.5, v30, v4
	v_mov_b32_e32 v31, v30
	v_fmac_f32_e32 v31, 0x3f737871, v46
	v_sub_f32_e32 v4, v99, v98
	v_sub_f32_e32 v47, v105, v101
	v_fmac_f32_e32 v30, 0xbf737871, v46
	v_fmac_f32_e32 v31, 0xbf167918, v45
	v_add_f32_e32 v4, v4, v47
	v_fmac_f32_e32 v30, 0x3f167918, v45
	v_fmac_f32_e32 v31, 0x3e9e377a, v4
	;; [unrolled: 1-line block ×3, first 2 shown]
	v_add_f32_e32 v4, v13, v32
	v_add_f32_e32 v4, v4, v104
	;; [unrolled: 1-line block ×5, first 2 shown]
	v_fma_f32 v46, -0.5, v4, v13
	v_sub_f32_e32 v4, v98, v101
	v_mov_b32_e32 v47, v46
	v_fmac_f32_e32 v47, 0x3f737871, v4
	v_sub_f32_e32 v72, v99, v105
	v_sub_f32_e32 v48, v32, v104
	;; [unrolled: 1-line block ×3, first 2 shown]
	v_fmac_f32_e32 v46, 0xbf737871, v4
	v_fmac_f32_e32 v47, 0x3f167918, v72
	v_add_f32_e32 v48, v48, v49
	v_fmac_f32_e32 v46, 0xbf167918, v72
	v_fmac_f32_e32 v47, 0x3e9e377a, v48
	;; [unrolled: 1-line block ×3, first 2 shown]
	v_add_f32_e32 v48, v32, v34
	v_fma_f32 v48, -0.5, v48, v13
	v_mov_b32_e32 v49, v48
	v_fmac_f32_e32 v49, 0xbf737871, v72
	v_fmac_f32_e32 v48, 0x3f737871, v72
	;; [unrolled: 1-line block ×4, first 2 shown]
	v_add_f32_e32 v4, v5, v102
	v_sub_f32_e32 v13, v104, v32
	v_sub_f32_e32 v32, v100, v34
	v_add_f32_e32 v4, v4, v106
	v_add_f32_e32 v13, v13, v32
	;; [unrolled: 1-line block ×3, first 2 shown]
	v_fmac_f32_e32 v49, 0x3e9e377a, v13
	v_fmac_f32_e32 v48, 0x3e9e377a, v13
	v_add_f32_e32 v13, v4, v74
	v_add_f32_e32 v4, v106, v115
	v_fma_f32 v4, -0.5, v4, v5
	v_sub_f32_e32 v72, v103, v120
	v_mov_b32_e32 v32, v4
	v_fmac_f32_e32 v32, 0xbf737871, v72
	v_sub_f32_e32 v73, v107, v116
	v_sub_f32_e32 v34, v102, v106
	;; [unrolled: 1-line block ×3, first 2 shown]
	v_fmac_f32_e32 v4, 0x3f737871, v72
	v_fmac_f32_e32 v32, 0xbf167918, v73
	v_add_f32_e32 v34, v34, v76
	v_fmac_f32_e32 v4, 0x3f167918, v73
	v_fmac_f32_e32 v32, 0x3e9e377a, v34
	;; [unrolled: 1-line block ×3, first 2 shown]
	v_add_f32_e32 v34, v102, v74
	v_fmac_f32_e32 v5, -0.5, v34
	v_mov_b32_e32 v34, v5
	v_fmac_f32_e32 v34, 0x3f737871, v73
	v_fmac_f32_e32 v5, 0xbf737871, v73
	v_add_f32_e32 v73, v107, v116
	v_sub_f32_e32 v76, v106, v102
	v_sub_f32_e32 v97, v115, v74
	v_fma_f32 v73, -0.5, v73, v14
	v_fmac_f32_e32 v34, 0xbf167918, v72
	v_add_f32_e32 v76, v76, v97
	v_fmac_f32_e32 v5, 0x3f167918, v72
	v_sub_f32_e32 v97, v102, v74
	v_mov_b32_e32 v74, v73
	v_fmac_f32_e32 v34, 0x3e9e377a, v76
	v_fmac_f32_e32 v5, 0x3e9e377a, v76
	;; [unrolled: 1-line block ×3, first 2 shown]
	v_sub_f32_e32 v98, v106, v115
	v_sub_f32_e32 v76, v103, v107
	;; [unrolled: 1-line block ×3, first 2 shown]
	v_fmac_f32_e32 v73, 0xbf737871, v97
	v_fmac_f32_e32 v74, 0x3f167918, v98
	v_add_f32_e32 v76, v76, v99
	v_fmac_f32_e32 v73, 0xbf167918, v98
	v_fmac_f32_e32 v74, 0x3e9e377a, v76
	;; [unrolled: 1-line block ×3, first 2 shown]
	v_add_f32_e32 v76, v103, v120
	v_add_f32_e32 v72, v14, v103
	v_fmac_f32_e32 v14, -0.5, v76
	v_mov_b32_e32 v76, v14
	v_fmac_f32_e32 v76, 0xbf737871, v98
	v_fmac_f32_e32 v14, 0x3f737871, v98
	;; [unrolled: 1-line block ×4, first 2 shown]
	v_add3_u32 v97, 0, v19, v85
	s_barrier
	ds_write2_b32 v97, v87, v88 offset1:3
	ds_write2_b32 v97, v94, v93 offset0:6 offset1:9
	ds_write_b32 v97, v27 offset:48
	v_add3_u32 v88, 0, v6, v26
	v_mul_u32_u24_e32 v6, 60, v20
	v_add3_u32 v85, 0, v6, v25
	v_mul_u32_u24_e32 v6, 60, v17
	;; [unrolled: 2-line block ×3, first 2 shown]
	v_lshlrev_b32_e32 v22, 2, v126
	v_add_f32_e32 v72, v72, v107
	v_sub_f32_e32 v99, v107, v103
	v_sub_f32_e32 v100, v116, v120
	ds_write2_b32 v88, v92, v95 offset1:3
	ds_write2_b32 v88, v96, v12 offset0:6 offset1:9
	ds_write_b32 v88, v29 offset:48
	ds_write2_b32 v85, v89, v91 offset1:3
	ds_write2_b32 v85, v38, v37 offset0:6 offset1:9
	ds_write_b32 v85, v11 offset:48
	;; [unrolled: 3-line block ×3, first 2 shown]
	v_add3_u32 v86, 0, v6, v23
	v_mul_u32_u24_e32 v6, 60, v18
	v_add_f32_e32 v72, v72, v116
	v_add_f32_e32 v99, v99, v100
	v_add3_u32 v89, 0, v6, v22
	s_movk_i32 s4, 0x89
	v_add_f32_e32 v72, v72, v120
	v_fmac_f32_e32 v76, 0x3e9e377a, v99
	v_fmac_f32_e32 v14, 0x3e9e377a, v99
	ds_write2_b32 v86, v33, v35 offset1:3
	ds_write2_b32 v86, v31, v30 offset0:6 offset1:9
	ds_write_b32 v86, v7 offset:48
	ds_write2_b32 v89, v13, v32 offset1:3
	ds_write2_b32 v89, v34, v5 offset0:6 offset1:9
	ds_write_b32 v89, v4 offset:48
	s_waitcnt lgkmcnt(0)
	s_barrier
	ds_read2_b32 v[10:11], v1 offset1:125
	ds_read2_b32 v[37:38], v57 offset0:110 offset1:235
	ds_read2_b32 v[35:36], v59 offset0:92 offset1:217
	;; [unrolled: 1-line block ×14, first 2 shown]
	s_waitcnt lgkmcnt(0)
	s_barrier
	ds_write2_b32 v97, v80, v81 offset1:3
	ds_write2_b32 v97, v79, v78 offset0:6 offset1:9
	ds_write_b32 v97, v77 offset:48
	ds_write2_b32 v88, v83, v84 offset1:3
	ds_write2_b32 v88, v82, v16 offset0:6 offset1:9
	ds_write_b32 v88, v75 offset:48
	;; [unrolled: 3-line block ×6, first 2 shown]
	v_mul_lo_u16_sdwa v8, v0, s4 dst_sel:DWORD dst_unused:UNUSED_PAD src0_sel:BYTE_0 src1_sel:DWORD
	v_lshrrev_b16_e32 v78, 11, v8
	v_mul_lo_u16_e32 v8, 15, v78
	v_sub_u16_e32 v51, v0, v8
	v_lshlrev_b32_sdwa v8, v71, v51 dst_sel:DWORD dst_unused:UNUSED_PAD src0_sel:DWORD src1_sel:BYTE_0
	s_waitcnt lgkmcnt(0)
	s_barrier
	global_load_dwordx4 v[43:46], v8, s[8:9] offset:96
	v_mul_lo_u16_sdwa v9, v63, s4 dst_sel:DWORD dst_unused:UNUSED_PAD src0_sel:BYTE_0 src1_sel:DWORD
	v_lshrrev_b16_e32 v40, 11, v9
	v_mul_lo_u16_e32 v9, 15, v40
	v_sub_u16_e32 v77, v63, v9
	v_lshlrev_b32_sdwa v9, v71, v77 dst_sel:DWORD dst_unused:UNUSED_PAD src0_sel:DWORD src1_sel:BYTE_0
	global_load_dwordx4 v[47:50], v9, s[8:9] offset:96
	global_load_dwordx4 v[71:74], v8, s[8:9] offset:112
	;; [unrolled: 1-line block ×3, first 2 shown]
	s_mov_b32 s4, 0x8889
	v_mul_u32_u24_sdwa v8, v64, s4 dst_sel:DWORD dst_unused:UNUSED_PAD src0_sel:WORD_0 src1_sel:DWORD
	v_mul_u32_u24_sdwa v9, v70, s4 dst_sel:DWORD dst_unused:UNUSED_PAD src0_sel:WORD_0 src1_sel:DWORD
	v_lshrrev_b32_e32 v41, 19, v8
	v_lshrrev_b32_e32 v39, 19, v9
	v_mul_lo_u16_e32 v8, 15, v41
	v_mul_lo_u16_e32 v9, 15, v39
	v_sub_u16_e32 v113, v64, v8
	v_sub_u16_e32 v114, v70, v9
	v_lshlrev_b32_e32 v8, 5, v113
	v_lshlrev_b32_e32 v9, 5, v114
	global_load_dwordx4 v[83:86], v8, s[8:9] offset:96
	global_load_dwordx4 v[87:90], v9, s[8:9] offset:96
	;; [unrolled: 1-line block ×4, first 2 shown]
	ds_read2_b32 v[14:15], v1 offset1:125
	ds_read2_b32 v[75:76], v57 offset0:110 offset1:235
	ds_read2_b32 v[107:108], v59 offset0:92 offset1:217
	;; [unrolled: 1-line block ×5, first 2 shown]
	v_mul_u32_u24_e32 v78, 0x12c, v78
	s_waitcnt vmcnt(7)
	v_mul_f32_e32 v16, v37, v44
	s_waitcnt lgkmcnt(4)
	v_mul_f32_e32 v115, v75, v44
	v_fma_f32 v116, v75, v43, -v16
	v_mul_u32_u24_sdwa v16, v61, s4 dst_sel:DWORD dst_unused:UNUSED_PAD src0_sel:WORD_0 src1_sel:DWORD
	v_fmac_f32_e32 v115, v37, v43
	v_lshrrev_b32_e32 v37, 19, v16
	v_mul_lo_u16_e32 v16, 15, v37
	v_sub_u16_e32 v118, v61, v16
	v_lshlrev_b32_e32 v16, 5, v118
	global_load_dwordx4 v[99:102], v16, s[8:9] offset:112
	global_load_dwordx4 v[103:106], v16, s[8:9] offset:96
	v_mul_f32_e32 v16, v35, v46
	s_waitcnt lgkmcnt(3)
	v_mul_f32_e32 v117, v107, v46
	v_fma_f32 v107, v107, v45, -v16
	s_waitcnt vmcnt(8)
	v_mul_f32_e32 v119, v76, v48
	v_mul_f32_e32 v16, v38, v48
	v_fmac_f32_e32 v119, v38, v47
	v_fma_f32 v38, v76, v47, -v16
	v_mul_f32_e32 v16, v36, v50
	v_mul_f32_e32 v120, v108, v50
	v_fma_f32 v108, v108, v49, -v16
	v_mul_u32_u24_sdwa v16, v60, s4 dst_sel:DWORD dst_unused:UNUSED_PAD src0_sel:WORD_0 src1_sel:DWORD
	v_lshrrev_b32_e32 v16, 19, v16
	v_fmac_f32_e32 v117, v35, v45
	v_mul_lo_u16_e32 v35, 15, v16
	v_sub_u16_e32 v121, v60, v35
	v_lshlrev_b32_e32 v35, 5, v121
	v_fmac_f32_e32 v120, v36, v49
	global_load_dwordx4 v[43:46], v35, s[8:9] offset:112
	global_load_dwordx4 v[47:50], v35, s[8:9] offset:96
	s_waitcnt vmcnt(9) lgkmcnt(2)
	v_mul_f32_e32 v122, v109, v72
	s_waitcnt lgkmcnt(1)
	v_mul_f32_e32 v123, v111, v74
	v_fmac_f32_e32 v122, v33, v71
	v_mul_f32_e32 v33, v33, v72
	v_fmac_f32_e32 v123, v12, v73
	v_mul_f32_e32 v12, v12, v74
	ds_read2_b32 v[35:36], v54 offset0:104 offset1:229
	v_fma_f32 v109, v109, v71, -v33
	v_fma_f32 v111, v111, v73, -v12
	ds_read2_b32 v[71:72], v62 offset0:86 offset1:211
	ds_read2_b32 v[73:74], v55 offset0:68 offset1:193
	s_waitcnt vmcnt(8)
	v_mul_f32_e32 v124, v110, v80
	v_fmac_f32_e32 v124, v34, v79
	v_mul_f32_e32 v12, v34, v80
	ds_read2_b32 v[33:34], v53 offset0:50 offset1:175
	s_waitcnt vmcnt(7) lgkmcnt(2)
	v_mul_f32_e32 v128, v71, v86
	v_mul_f32_e32 v126, v35, v84
	v_fmac_f32_e32 v128, v29, v85
	v_mul_f32_e32 v29, v29, v86
	v_fma_f32 v110, v110, v79, -v12
	v_mul_f32_e32 v125, v112, v82
	v_mul_f32_e32 v12, v13, v82
	v_fmac_f32_e32 v126, v31, v83
	v_mul_f32_e32 v31, v31, v84
	v_fma_f32 v129, v71, v85, -v29
	s_waitcnt vmcnt(6)
	v_mul_f32_e32 v130, v36, v88
	v_mul_f32_e32 v29, v32, v88
	v_fmac_f32_e32 v125, v13, v81
	v_fma_f32 v112, v112, v81, -v12
	ds_read2_b32 v[12:13], v65 offset0:116 offset1:241
	v_fma_f32 v127, v35, v83, -v31
	ds_read2_b32 v[75:76], v66 offset0:98 offset1:223
	ds_read2_b32 v[79:80], v69 offset0:80 offset1:205
	v_fmac_f32_e32 v130, v32, v87
	v_fma_f32 v32, v36, v87, -v29
	ds_read2_b32 v[35:36], v67 offset0:62 offset1:187
	v_mul_f32_e32 v29, v30, v90
	v_mul_f32_e32 v131, v72, v90
	v_fma_f32 v132, v72, v89, -v29
	ds_read2_b32 v[71:72], v68 offset0:44 offset1:169
	v_fmac_f32_e32 v131, v30, v89
	s_waitcnt vmcnt(5) lgkmcnt(5)
	v_mul_f32_e32 v89, v33, v94
	v_fmac_f32_e32 v89, v25, v93
	v_mul_f32_e32 v25, v25, v94
	v_lshlrev_b32_e32 v29, 2, v113
	v_fma_f32 v33, v33, v93, -v25
	s_waitcnt vmcnt(4)
	v_mul_f32_e32 v113, v74, v96
	v_mul_f32_e32 v25, v28, v96
	v_fmac_f32_e32 v113, v28, v95
	v_fma_f32 v28, v74, v95, -v25
	v_mul_f32_e32 v74, v34, v98
	v_mul_f32_e32 v25, v26, v98
	v_lshlrev_b32_sdwa v31, v42, v51 dst_sel:DWORD dst_unused:UNUSED_PAD src0_sel:DWORD src1_sel:BYTE_0
	v_mul_f32_e32 v51, v73, v92
	v_fmac_f32_e32 v74, v26, v97
	v_fma_f32 v26, v34, v97, -v25
	v_fmac_f32_e32 v51, v27, v91
	v_mul_f32_e32 v27, v27, v92
	v_fma_f32 v73, v73, v91, -v27
	v_lshlrev_b32_e32 v27, 2, v114
	v_lshlrev_b32_e32 v25, 2, v118
	v_lshlrev_b32_sdwa v30, v42, v77 dst_sel:DWORD dst_unused:UNUSED_PAD src0_sel:DWORD src1_sel:BYTE_0
	s_waitcnt vmcnt(2) lgkmcnt(0)
	v_mul_f32_e32 v96, v75, v104
	v_fmac_f32_e32 v96, v23, v103
	v_mul_f32_e32 v23, v23, v104
	v_mul_f32_e32 v104, v35, v100
	v_fmac_f32_e32 v104, v19, v99
	v_mul_f32_e32 v19, v19, v100
	;; [unrolled: 3-line block ×3, first 2 shown]
	v_fma_f32 v101, v71, v101, -v17
	v_lshlrev_b32_e32 v17, 2, v121
	v_mul_f32_e32 v98, v79, v106
	v_fmac_f32_e32 v98, v21, v105
	v_mul_f32_e32 v21, v21, v106
	v_fma_f32 v99, v35, v99, -v19
	v_fma_f32 v97, v75, v103, -v23
	;; [unrolled: 1-line block ×3, first 2 shown]
	s_waitcnt vmcnt(1)
	v_mul_f32_e32 v121, v72, v46
	v_fmac_f32_e32 v121, v18, v45
	v_mul_f32_e32 v18, v18, v46
	v_fma_f32 v133, v72, v45, -v18
	v_add_f32_e32 v18, v10, v115
	v_add_f32_e32 v18, v18, v117
	s_waitcnt vmcnt(0)
	v_mul_f32_e32 v19, v24, v48
	v_add_f32_e32 v18, v18, v122
	v_fma_f32 v105, v76, v47, -v19
	v_mul_f32_e32 v19, v22, v50
	v_add_f32_e32 v86, v18, v123
	v_add_f32_e32 v18, v117, v122
	v_fma_f32 v106, v80, v49, -v19
	v_mul_f32_e32 v19, v20, v44
	v_fma_f32 v18, -0.5, v18, v10
	v_mul_f32_e32 v102, v76, v48
	v_mul_f32_e32 v76, v80, v50
	;; [unrolled: 1-line block ×3, first 2 shown]
	v_fma_f32 v118, v36, v43, -v19
	v_sub_f32_e32 v19, v116, v111
	v_mov_b32_e32 v87, v18
	v_fmac_f32_e32 v76, v22, v49
	v_fmac_f32_e32 v114, v20, v43
	;; [unrolled: 1-line block ×3, first 2 shown]
	v_sub_f32_e32 v20, v107, v109
	v_sub_f32_e32 v21, v115, v117
	;; [unrolled: 1-line block ×3, first 2 shown]
	v_fmac_f32_e32 v18, 0x3f737871, v19
	v_fmac_f32_e32 v87, 0xbf167918, v20
	v_add_f32_e32 v21, v21, v22
	v_fmac_f32_e32 v18, 0x3f167918, v20
	v_fmac_f32_e32 v87, 0x3e9e377a, v21
	;; [unrolled: 1-line block ×3, first 2 shown]
	v_add_f32_e32 v21, v115, v123
	v_fma_f32 v92, -0.5, v21, v10
	v_mov_b32_e32 v93, v92
	v_fmac_f32_e32 v93, 0x3f737871, v20
	v_sub_f32_e32 v10, v117, v115
	v_sub_f32_e32 v21, v122, v123
	v_fmac_f32_e32 v92, 0xbf737871, v20
	v_fmac_f32_e32 v93, 0xbf167918, v19
	v_add_f32_e32 v10, v10, v21
	v_fmac_f32_e32 v92, 0x3f167918, v19
	v_fmac_f32_e32 v93, 0x3e9e377a, v10
	;; [unrolled: 1-line block ×3, first 2 shown]
	v_add_f32_e32 v10, v14, v116
	v_add_f32_e32 v10, v10, v107
	;; [unrolled: 1-line block ×5, first 2 shown]
	v_fma_f32 v77, -0.5, v10, v14
	v_sub_f32_e32 v10, v115, v123
	v_mov_b32_e32 v82, v77
	v_fmac_f32_e32 v82, 0x3f737871, v10
	v_sub_f32_e32 v19, v117, v122
	v_sub_f32_e32 v20, v116, v107
	;; [unrolled: 1-line block ×3, first 2 shown]
	v_fmac_f32_e32 v77, 0xbf737871, v10
	v_fmac_f32_e32 v82, 0x3f167918, v19
	v_add_f32_e32 v20, v20, v21
	v_fmac_f32_e32 v77, 0xbf167918, v19
	v_fmac_f32_e32 v82, 0x3e9e377a, v20
	;; [unrolled: 1-line block ×3, first 2 shown]
	v_add_f32_e32 v20, v116, v111
	v_fma_f32 v79, -0.5, v20, v14
	v_mov_b32_e32 v80, v79
	v_fmac_f32_e32 v80, 0xbf737871, v19
	v_fmac_f32_e32 v79, 0x3f737871, v19
	;; [unrolled: 1-line block ×4, first 2 shown]
	v_add_f32_e32 v10, v11, v119
	v_add_f32_e32 v10, v10, v120
	;; [unrolled: 1-line block ×5, first 2 shown]
	v_sub_f32_e32 v14, v107, v116
	v_sub_f32_e32 v20, v109, v111
	v_fma_f32 v21, -0.5, v10, v11
	v_add_f32_e32 v14, v14, v20
	v_sub_f32_e32 v10, v38, v112
	v_mov_b32_e32 v94, v21
	v_fmac_f32_e32 v80, 0x3e9e377a, v14
	v_fmac_f32_e32 v79, 0x3e9e377a, v14
	;; [unrolled: 1-line block ×3, first 2 shown]
	v_sub_f32_e32 v14, v108, v110
	v_sub_f32_e32 v19, v119, v120
	;; [unrolled: 1-line block ×3, first 2 shown]
	v_fmac_f32_e32 v21, 0x3f737871, v10
	v_fmac_f32_e32 v94, 0xbf167918, v14
	v_add_f32_e32 v19, v19, v20
	v_fmac_f32_e32 v21, 0x3f167918, v14
	v_fmac_f32_e32 v94, 0x3e9e377a, v19
	;; [unrolled: 1-line block ×3, first 2 shown]
	v_add_f32_e32 v19, v119, v125
	v_fmac_f32_e32 v11, -0.5, v19
	v_mov_b32_e32 v95, v11
	v_fmac_f32_e32 v95, 0x3f737871, v14
	v_fmac_f32_e32 v11, 0xbf737871, v14
	;; [unrolled: 1-line block ×4, first 2 shown]
	v_add_f32_e32 v10, v15, v38
	v_add_f32_e32 v10, v10, v108
	;; [unrolled: 1-line block ×5, first 2 shown]
	v_sub_f32_e32 v19, v120, v119
	v_sub_f32_e32 v20, v124, v125
	v_fma_f32 v75, -0.5, v10, v15
	v_add_f32_e32 v19, v19, v20
	v_sub_f32_e32 v10, v119, v125
	v_mov_b32_e32 v85, v75
	v_fmac_f32_e32 v95, 0x3e9e377a, v19
	v_fmac_f32_e32 v11, 0x3e9e377a, v19
	;; [unrolled: 1-line block ×3, first 2 shown]
	v_sub_f32_e32 v14, v120, v124
	v_sub_f32_e32 v19, v38, v108
	;; [unrolled: 1-line block ×3, first 2 shown]
	v_fmac_f32_e32 v75, 0xbf737871, v10
	v_fmac_f32_e32 v85, 0x3f167918, v14
	v_add_f32_e32 v19, v19, v20
	v_fmac_f32_e32 v75, 0xbf167918, v14
	v_fmac_f32_e32 v85, 0x3e9e377a, v19
	;; [unrolled: 1-line block ×3, first 2 shown]
	v_add_f32_e32 v19, v38, v112
	v_fmac_f32_e32 v15, -0.5, v19
	v_mov_b32_e32 v83, v15
	v_fmac_f32_e32 v83, 0xbf737871, v14
	v_fmac_f32_e32 v15, 0x3f737871, v14
	;; [unrolled: 1-line block ×4, first 2 shown]
	v_add_f32_e32 v10, v6, v126
	v_add_f32_e32 v10, v10, v128
	v_sub_f32_e32 v19, v108, v38
	v_sub_f32_e32 v20, v110, v112
	v_add_f32_e32 v10, v10, v51
	v_add_f32_e32 v19, v19, v20
	v_add_f32_e32 v88, v10, v89
	v_add_f32_e32 v10, v128, v51
	v_fmac_f32_e32 v83, 0x3e9e377a, v19
	v_fmac_f32_e32 v15, 0x3e9e377a, v19
	v_fma_f32 v19, -0.5, v10, v6
	v_sub_f32_e32 v10, v127, v33
	v_mov_b32_e32 v90, v19
	v_fmac_f32_e32 v90, 0xbf737871, v10
	v_sub_f32_e32 v14, v129, v73
	v_sub_f32_e32 v20, v126, v128
	;; [unrolled: 1-line block ×3, first 2 shown]
	v_fmac_f32_e32 v19, 0x3f737871, v10
	v_fmac_f32_e32 v90, 0xbf167918, v14
	v_add_f32_e32 v20, v20, v22
	v_fmac_f32_e32 v19, 0x3f167918, v14
	v_fmac_f32_e32 v90, 0x3e9e377a, v20
	;; [unrolled: 1-line block ×3, first 2 shown]
	v_add_f32_e32 v20, v126, v89
	v_fma_f32 v35, -0.5, v20, v6
	v_mov_b32_e32 v36, v35
	v_fmac_f32_e32 v36, 0x3f737871, v14
	v_sub_f32_e32 v6, v128, v126
	v_sub_f32_e32 v20, v51, v89
	v_fmac_f32_e32 v35, 0xbf737871, v14
	v_fmac_f32_e32 v36, 0xbf167918, v10
	v_add_f32_e32 v6, v6, v20
	v_fmac_f32_e32 v35, 0x3f167918, v10
	v_fmac_f32_e32 v36, 0x3e9e377a, v6
	;; [unrolled: 1-line block ×3, first 2 shown]
	v_add_f32_e32 v6, v8, v127
	v_add_f32_e32 v6, v6, v129
	;; [unrolled: 1-line block ×5, first 2 shown]
	v_fma_f32 v45, -0.5, v6, v8
	v_sub_f32_e32 v6, v126, v89
	v_mov_b32_e32 v48, v45
	v_fmac_f32_e32 v48, 0x3f737871, v6
	v_sub_f32_e32 v10, v128, v51
	v_sub_f32_e32 v14, v127, v129
	;; [unrolled: 1-line block ×3, first 2 shown]
	v_fmac_f32_e32 v45, 0xbf737871, v6
	v_fmac_f32_e32 v48, 0x3f167918, v10
	v_add_f32_e32 v14, v14, v20
	v_fmac_f32_e32 v45, 0xbf167918, v10
	v_fmac_f32_e32 v48, 0x3e9e377a, v14
	;; [unrolled: 1-line block ×3, first 2 shown]
	v_add_f32_e32 v14, v127, v33
	v_fmac_f32_e32 v102, v24, v47
	v_fma_f32 v47, -0.5, v14, v8
	v_mov_b32_e32 v49, v47
	v_fmac_f32_e32 v49, 0xbf737871, v10
	v_fmac_f32_e32 v47, 0x3f737871, v10
	;; [unrolled: 1-line block ×4, first 2 shown]
	v_add_f32_e32 v6, v7, v130
	v_add_f32_e32 v6, v6, v131
	;; [unrolled: 1-line block ×5, first 2 shown]
	v_sub_f32_e32 v8, v129, v127
	v_sub_f32_e32 v14, v73, v33
	v_fma_f32 v20, -0.5, v6, v7
	v_add_f32_e32 v8, v8, v14
	v_sub_f32_e32 v6, v32, v26
	v_mov_b32_e32 v38, v20
	v_fmac_f32_e32 v49, 0x3e9e377a, v8
	v_fmac_f32_e32 v47, 0x3e9e377a, v8
	;; [unrolled: 1-line block ×3, first 2 shown]
	v_sub_f32_e32 v8, v132, v28
	v_sub_f32_e32 v10, v130, v131
	;; [unrolled: 1-line block ×3, first 2 shown]
	v_fmac_f32_e32 v20, 0x3f737871, v6
	v_fmac_f32_e32 v38, 0xbf167918, v8
	v_add_f32_e32 v10, v10, v14
	v_fmac_f32_e32 v20, 0x3f167918, v8
	v_fmac_f32_e32 v38, 0x3e9e377a, v10
	;; [unrolled: 1-line block ×3, first 2 shown]
	v_add_f32_e32 v10, v130, v74
	v_fmac_f32_e32 v7, -0.5, v10
	v_mov_b32_e32 v89, v7
	v_fmac_f32_e32 v89, 0x3f737871, v8
	v_fmac_f32_e32 v7, 0xbf737871, v8
	;; [unrolled: 1-line block ×4, first 2 shown]
	v_add_f32_e32 v6, v9, v32
	v_add_f32_e32 v6, v6, v132
	;; [unrolled: 1-line block ×3, first 2 shown]
	v_sub_f32_e32 v10, v131, v130
	v_sub_f32_e32 v14, v113, v74
	v_add_f32_e32 v8, v6, v26
	v_add_f32_e32 v6, v132, v28
	;; [unrolled: 1-line block ×3, first 2 shown]
	v_fma_f32 v14, -0.5, v6, v9
	v_sub_f32_e32 v6, v130, v74
	v_mov_b32_e32 v43, v14
	v_fmac_f32_e32 v89, 0x3e9e377a, v10
	v_fmac_f32_e32 v7, 0x3e9e377a, v10
	;; [unrolled: 1-line block ×3, first 2 shown]
	v_sub_f32_e32 v10, v131, v113
	v_sub_f32_e32 v22, v32, v132
	;; [unrolled: 1-line block ×3, first 2 shown]
	v_fmac_f32_e32 v14, 0xbf737871, v6
	v_fmac_f32_e32 v43, 0x3f167918, v10
	v_add_f32_e32 v22, v22, v23
	v_fmac_f32_e32 v14, 0xbf167918, v10
	v_fmac_f32_e32 v43, 0x3e9e377a, v22
	;; [unrolled: 1-line block ×3, first 2 shown]
	v_add_f32_e32 v22, v32, v26
	v_fmac_f32_e32 v9, -0.5, v22
	v_mov_b32_e32 v44, v9
	v_fmac_f32_e32 v44, 0xbf737871, v10
	v_fmac_f32_e32 v9, 0x3f737871, v10
	;; [unrolled: 1-line block ×4, first 2 shown]
	v_add_f32_e32 v6, v4, v96
	v_add_f32_e32 v6, v6, v98
	;; [unrolled: 1-line block ×3, first 2 shown]
	v_sub_f32_e32 v23, v28, v26
	v_add_f32_e32 v28, v6, v100
	v_add_f32_e32 v6, v98, v104
	v_sub_f32_e32 v22, v132, v32
	v_fma_f32 v6, -0.5, v6, v4
	v_add_f32_e32 v22, v22, v23
	v_sub_f32_e32 v10, v97, v101
	v_mov_b32_e32 v33, v6
	v_fmac_f32_e32 v44, 0x3e9e377a, v22
	v_fmac_f32_e32 v9, 0x3e9e377a, v22
	v_fmac_f32_e32 v33, 0xbf737871, v10
	v_sub_f32_e32 v22, v103, v99
	v_sub_f32_e32 v23, v96, v98
	;; [unrolled: 1-line block ×3, first 2 shown]
	v_fmac_f32_e32 v6, 0x3f737871, v10
	v_fmac_f32_e32 v33, 0xbf167918, v22
	v_add_f32_e32 v23, v23, v24
	v_fmac_f32_e32 v6, 0x3f167918, v22
	v_fmac_f32_e32 v33, 0x3e9e377a, v23
	;; [unrolled: 1-line block ×3, first 2 shown]
	v_add_f32_e32 v23, v96, v100
	v_fma_f32 v23, -0.5, v23, v4
	v_mov_b32_e32 v24, v23
	v_fmac_f32_e32 v24, 0x3f737871, v22
	v_fmac_f32_e32 v23, 0xbf737871, v22
	v_fmac_f32_e32 v24, 0xbf167918, v10
	v_fmac_f32_e32 v23, 0x3f167918, v10
	v_add_f32_e32 v10, v103, v99
	v_fma_f32 v50, -0.5, v10, v12
	v_sub_f32_e32 v4, v98, v96
	v_sub_f32_e32 v26, v104, v100
	;; [unrolled: 1-line block ×3, first 2 shown]
	v_mov_b32_e32 v51, v50
	v_add_f32_e32 v4, v4, v26
	v_fmac_f32_e32 v51, 0x3f737871, v10
	v_sub_f32_e32 v22, v98, v104
	v_sub_f32_e32 v26, v97, v103
	v_sub_f32_e32 v32, v101, v99
	v_fmac_f32_e32 v50, 0xbf737871, v10
	v_fmac_f32_e32 v51, 0x3f167918, v22
	v_add_f32_e32 v26, v26, v32
	v_fmac_f32_e32 v50, 0xbf167918, v22
	v_fmac_f32_e32 v51, 0x3e9e377a, v26
	;; [unrolled: 1-line block ×3, first 2 shown]
	v_add_f32_e32 v26, v97, v101
	v_fmac_f32_e32 v24, 0x3e9e377a, v4
	v_fmac_f32_e32 v23, 0x3e9e377a, v4
	v_add_f32_e32 v4, v12, v97
	v_fma_f32 v12, -0.5, v26, v12
	v_mov_b32_e32 v71, v12
	v_fmac_f32_e32 v71, 0xbf737871, v22
	v_fmac_f32_e32 v12, 0x3f737871, v22
	;; [unrolled: 1-line block ×4, first 2 shown]
	v_add_f32_e32 v10, v5, v102
	v_add_f32_e32 v10, v10, v76
	v_add_f32_e32 v10, v10, v114
	v_sub_f32_e32 v26, v103, v97
	v_sub_f32_e32 v32, v99, v101
	v_add_f32_e32 v22, v10, v121
	v_add_f32_e32 v10, v76, v114
	;; [unrolled: 1-line block ×3, first 2 shown]
	v_fma_f32 v10, -0.5, v10, v5
	v_fmac_f32_e32 v71, 0x3e9e377a, v26
	v_fmac_f32_e32 v12, 0x3e9e377a, v26
	v_sub_f32_e32 v72, v105, v133
	v_mov_b32_e32 v26, v10
	v_fmac_f32_e32 v26, 0xbf737871, v72
	v_sub_f32_e32 v73, v106, v118
	v_sub_f32_e32 v32, v102, v76
	;; [unrolled: 1-line block ×3, first 2 shown]
	v_fmac_f32_e32 v10, 0x3f737871, v72
	v_fmac_f32_e32 v26, 0xbf167918, v73
	v_add_f32_e32 v32, v32, v74
	v_fmac_f32_e32 v10, 0x3f167918, v73
	v_fmac_f32_e32 v26, 0x3e9e377a, v32
	;; [unrolled: 1-line block ×3, first 2 shown]
	v_add_f32_e32 v32, v102, v121
	v_fmac_f32_e32 v5, -0.5, v32
	v_mov_b32_e32 v32, v5
	v_fmac_f32_e32 v32, 0x3f737871, v73
	v_sub_f32_e32 v74, v76, v102
	v_sub_f32_e32 v96, v114, v121
	v_fmac_f32_e32 v5, 0xbf737871, v73
	v_add_f32_e32 v73, v106, v118
	v_fmac_f32_e32 v32, 0xbf167918, v72
	v_add_f32_e32 v74, v74, v96
	v_fmac_f32_e32 v5, 0x3f167918, v72
	v_fma_f32 v73, -0.5, v73, v13
	v_fmac_f32_e32 v32, 0x3e9e377a, v74
	v_fmac_f32_e32 v5, 0x3e9e377a, v74
	v_sub_f32_e32 v96, v102, v121
	v_mov_b32_e32 v74, v73
	v_fmac_f32_e32 v74, 0x3f737871, v96
	v_sub_f32_e32 v97, v76, v114
	v_sub_f32_e32 v76, v105, v106
	;; [unrolled: 1-line block ×3, first 2 shown]
	v_fmac_f32_e32 v73, 0xbf737871, v96
	v_fmac_f32_e32 v74, 0x3f167918, v97
	v_add_f32_e32 v76, v76, v98
	v_fmac_f32_e32 v73, 0xbf167918, v97
	v_fmac_f32_e32 v74, 0x3e9e377a, v76
	;; [unrolled: 1-line block ×3, first 2 shown]
	v_add_f32_e32 v76, v105, v133
	v_add_f32_e32 v72, v13, v105
	v_fmac_f32_e32 v13, -0.5, v76
	v_mov_b32_e32 v76, v13
	v_fmac_f32_e32 v76, 0xbf737871, v97
	v_fmac_f32_e32 v13, 0x3f737871, v97
	v_fmac_f32_e32 v76, 0x3f167918, v96
	v_fmac_f32_e32 v13, 0xbf167918, v96
	v_add3_u32 v96, 0, v78, v31
	s_barrier
	ds_write2_b32 v96, v86, v87 offset1:15
	ds_write2_b32 v96, v93, v92 offset0:30 offset1:45
	ds_write_b32 v96, v18 offset:240
	v_mul_u32_u24_e32 v18, 0x12c, v40
	v_add3_u32 v92, 0, v18, v30
	ds_write2_b32 v92, v91, v94 offset1:15
	ds_write2_b32 v92, v95, v11 offset0:30 offset1:45
	ds_write_b32 v92, v21 offset:240
	v_mul_u32_u24_e32 v11, 0x12c, v41
	v_add3_u32 v78, 0, v11, v29
	v_mul_u32_u24_e32 v11, 0x12c, v39
	v_add3_u32 v86, 0, v11, v27
	ds_write2_b32 v78, v88, v90 offset1:15
	ds_write2_b32 v78, v36, v35 offset0:30 offset1:45
	ds_write_b32 v78, v19 offset:240
	ds_write2_b32 v86, v34, v38 offset1:15
	ds_write2_b32 v86, v89, v7 offset0:30 offset1:45
	ds_write_b32 v86, v20 offset:240
	v_mul_u32_u24_e32 v7, 0x12c, v37
	v_add_f32_e32 v4, v4, v103
	v_add3_u32 v87, 0, v7, v25
	v_add_f32_e32 v4, v4, v99
	v_add_f32_e32 v72, v72, v106
	v_sub_f32_e32 v98, v106, v105
	v_sub_f32_e32 v99, v118, v133
	ds_write2_b32 v87, v28, v33 offset1:15
	ds_write2_b32 v87, v24, v23 offset0:30 offset1:45
	ds_write_b32 v87, v6 offset:240
	v_mul_u32_u24_e32 v6, 0x12c, v16
	v_add_f32_e32 v4, v4, v101
	v_add_f32_e32 v72, v72, v118
	;; [unrolled: 1-line block ×3, first 2 shown]
	v_add3_u32 v88, 0, v6, v17
	s_movk_i32 s4, 0x4b
	v_add_f32_e32 v72, v72, v133
	v_fmac_f32_e32 v76, 0x3e9e377a, v98
	v_fmac_f32_e32 v13, 0x3e9e377a, v98
	ds_write2_b32 v88, v22, v26 offset1:15
	ds_write2_b32 v88, v32, v5 offset0:30 offset1:45
	ds_write_b32 v88, v10 offset:240
	s_waitcnt lgkmcnt(0)
	s_barrier
	ds_read2_b32 v[10:11], v1 offset1:125
	ds_read2_b32 v[6:7], v52 offset0:122 offset1:247
	ds_read2_b32 v[38:39], v57 offset0:110 offset1:235
	;; [unrolled: 1-line block ×14, first 2 shown]
	s_waitcnt lgkmcnt(0)
	s_barrier
	ds_write2_b32 v96, v81, v82 offset1:15
	ds_write2_b32 v96, v80, v79 offset0:30 offset1:45
	ds_write_b32 v96, v77 offset:240
	ds_write2_b32 v92, v84, v85 offset1:15
	ds_write2_b32 v92, v83, v15 offset0:30 offset1:45
	ds_write_b32 v92, v75 offset:240
	;; [unrolled: 3-line block ×6, first 2 shown]
	v_add_u32_e32 v4, 0xffffffb5, v0
	v_cmp_gt_u32_e32 vcc, s4, v0
	v_cndmask_b32_e32 v15, v4, v0, vcc
	v_mul_i32_i24_e32 v4, 9, v15
	v_mov_b32_e32 v5, 0
	v_lshlrev_b64 v[8:9], 3, v[4:5]
	v_mov_b32_e32 v4, s9
	v_add_co_u32_e32 v8, vcc, s8, v8
	s_movk_i32 s4, 0xdb
	v_addc_co_u32_e32 v9, vcc, v4, v9, vcc
	v_mul_lo_u16_sdwa v4, v63, s4 dst_sel:DWORD dst_unused:UNUSED_PAD src0_sel:BYTE_0 src1_sel:DWORD
	v_lshrrev_b16_e32 v14, 14, v4
	s_waitcnt lgkmcnt(0)
	s_barrier
	global_load_dwordx4 v[43:46], v[8:9], off offset:576
	v_mul_lo_u16_e32 v4, 0x4b, v14
	v_sub_u16_e32 v4, v63, v4
	v_mov_b32_e32 v12, 9
	v_mul_u32_u24_sdwa v12, v4, v12 dst_sel:DWORD dst_unused:UNUSED_PAD src0_sel:BYTE_0 src1_sel:DWORD
	v_lshlrev_b32_e32 v51, 3, v12
	global_load_dwordx4 v[47:50], v51, s[8:9] offset:576
	s_mov_b32 s4, 0xb4e9
	v_mul_u32_u24_sdwa v12, v64, s4 dst_sel:DWORD dst_unused:UNUSED_PAD src0_sel:WORD_0 src1_sel:DWORD
	v_sub_u16_sdwa v13, v64, v12 dst_sel:DWORD dst_unused:UNUSED_PAD src0_sel:DWORD src1_sel:WORD_1
	v_lshrrev_b16_e32 v13, 1, v13
	v_add_u16_sdwa v12, v13, v12 dst_sel:DWORD dst_unused:UNUSED_PAD src0_sel:DWORD src1_sel:WORD_1
	v_lshrrev_b16_e32 v12, 6, v12
	v_mul_lo_u16_e32 v13, 0x4b, v12
	v_sub_u16_e32 v13, v64, v13
	v_mul_u32_u24_e32 v71, 9, v13
	v_lshlrev_b32_e32 v84, 3, v71
	global_load_dwordx4 v[71:74], v84, s[8:9] offset:576
	global_load_dwordx4 v[78:81], v[8:9], off offset:592
	global_load_dwordx4 v[86:89], v[8:9], off offset:608
	;; [unrolled: 1-line block ×3, first 2 shown]
	global_load_dwordx4 v[96:99], v51, s[8:9] offset:592
	global_load_dwordx4 v[100:103], v51, s[8:9] offset:608
	global_load_dwordx2 v[75:76], v[8:9], off offset:640
	global_load_dwordx4 v[104:107], v84, s[8:9] offset:592
	ds_read2_b32 v[8:9], v52 offset0:122 offset1:247
	ds_read2_b32 v[82:83], v57 offset0:110 offset1:235
	;; [unrolled: 1-line block ×7, first 2 shown]
	global_load_dwordx4 v[108:111], v51, s[8:9] offset:624
	v_cmp_lt_u32_e32 vcc, s5, v0
	v_lshlrev_b32_e32 v15, 2, v15
	v_lshlrev_b32_sdwa v4, v42, v4 dst_sel:DWORD dst_unused:UNUSED_PAD src0_sel:DWORD src1_sel:BYTE_0
	s_movk_i32 s4, 0xbb8
	s_waitcnt vmcnt(10) lgkmcnt(6)
	v_mul_f32_e32 v126, v9, v44
	v_fmac_f32_e32 v126, v7, v43
	v_mul_f32_e32 v7, v7, v44
	v_fma_f32 v127, v9, v43, -v7
	global_load_dwordx2 v[43:44], v51, s[8:9] offset:640
	v_mul_f32_e32 v7, v38, v46
	s_waitcnt lgkmcnt(5)
	v_fma_f32 v129, v82, v45, -v7
	s_waitcnt vmcnt(10)
	v_mul_f32_e32 v7, v40, v48
	s_waitcnt lgkmcnt(0)
	v_mul_f32_e32 v85, v124, v48
	v_fma_f32 v91, v124, v47, -v7
	v_mul_f32_e32 v124, v83, v50
	v_mul_f32_e32 v7, v39, v50
	;; [unrolled: 1-line block ×3, first 2 shown]
	v_fmac_f32_e32 v85, v40, v47
	v_fmac_f32_e32 v124, v39, v49
	v_fma_f32 v130, v83, v49, -v7
	global_load_dwordx4 v[46:49], v84, s[8:9] offset:624
	global_load_dwordx4 v[112:115], v84, s[8:9] offset:608
	s_waitcnt vmcnt(11)
	v_mul_f32_e32 v77, v116, v74
	v_fmac_f32_e32 v77, v36, v73
	v_mul_f32_e32 v36, v36, v74
	v_fmac_f32_e32 v128, v38, v45
	v_mul_f32_e32 v7, v125, v72
	v_fma_f32 v45, v116, v73, -v36
	s_waitcnt vmcnt(10)
	v_mul_f32_e32 v50, v117, v79
	v_mul_f32_e32 v36, v37, v79
	v_fmac_f32_e32 v7, v41, v71
	v_mul_f32_e32 v9, v41, v72
	ds_read2_b32 v[38:39], v55 offset0:68 offset1:193
	ds_read2_b32 v[40:41], v56 offset0:56 offset1:181
	v_fmac_f32_e32 v50, v37, v78
	v_fma_f32 v51, v117, v78, -v36
	global_load_dwordx2 v[36:37], v84, s[8:9] offset:640
	v_fma_f32 v9, v125, v71, -v9
	v_mul_f32_e32 v71, v118, v81
	s_waitcnt vmcnt(10)
	v_mul_f32_e32 v73, v121, v87
	v_fmac_f32_e32 v71, v34, v80
	v_mul_f32_e32 v34, v34, v81
	v_fmac_f32_e32 v73, v25, v86
	v_mul_f32_e32 v25, v25, v87
	v_fma_f32 v72, v118, v80, -v34
	v_fma_f32 v74, v121, v86, -v25
	v_mul_f32_e32 v25, v32, v89
	s_waitcnt vmcnt(9) lgkmcnt(1)
	v_mul_f32_e32 v118, v39, v93
	v_fma_f32 v117, v122, v88, -v25
	v_fmac_f32_e32 v118, v21, v92
	v_mul_f32_e32 v21, v21, v93
	s_waitcnt lgkmcnt(0)
	v_mul_f32_e32 v121, v40, v95
	v_mul_f32_e32 v25, v30, v95
	v_fma_f32 v21, v39, v92, -v21
	v_fmac_f32_e32 v121, v30, v94
	v_fma_f32 v94, v40, v94, -v25
	ds_read2_b32 v[39:40], v66 offset0:98 offset1:223
	s_waitcnt vmcnt(8)
	v_mul_f32_e32 v95, v119, v99
	v_mul_f32_e32 v25, v35, v99
	v_fmac_f32_e32 v95, v35, v98
	v_fma_f32 v98, v119, v98, -v25
	s_waitcnt lgkmcnt(0)
	v_mul_f32_e32 v99, v39, v97
	v_mul_f32_e32 v25, v28, v97
	;; [unrolled: 1-line block ×3, first 2 shown]
	v_fmac_f32_e32 v99, v28, v96
	v_fma_f32 v39, v39, v96, -v25
	s_waitcnt vmcnt(7)
	v_mul_f32_e32 v96, v123, v103
	v_fmac_f32_e32 v116, v32, v88
	ds_read2_b32 v[34:35], v69 offset0:80 offset1:205
	v_fmac_f32_e32 v96, v33, v102
	v_mul_f32_e32 v25, v33, v103
	ds_read2_b32 v[32:33], v53 offset0:50 offset1:175
	v_fma_f32 v97, v123, v102, -v25
	s_waitcnt lgkmcnt(1)
	v_mul_f32_e32 v102, v34, v101
	v_mul_f32_e32 v25, v26, v101
	v_fmac_f32_e32 v102, v26, v100
	s_waitcnt vmcnt(6) lgkmcnt(0)
	v_mul_f32_e32 v28, v33, v76
	v_fma_f32 v34, v34, v100, -v25
	v_fmac_f32_e32 v28, v17, v75
	v_mul_f32_e32 v17, v17, v76
	s_waitcnt vmcnt(4)
	v_mul_f32_e32 v100, v41, v111
	ds_read2_b32 v[25:26], v67 offset0:62 offset1:187
	v_fma_f32 v17, v33, v75, -v17
	v_fmac_f32_e32 v100, v31, v110
	v_mul_f32_e32 v33, v31, v111
	ds_read2_b32 v[30:31], v68 offset0:44 offset1:169
	s_waitcnt lgkmcnt(1)
	v_mul_f32_e32 v101, v25, v109
	v_fmac_f32_e32 v101, v22, v108
	v_mul_f32_e32 v22, v22, v109
	v_fma_f32 v22, v25, v108, -v22
	s_waitcnt vmcnt(3) lgkmcnt(0)
	v_mul_f32_e32 v103, v30, v44
	v_fmac_f32_e32 v103, v18, v43
	v_mul_f32_e32 v18, v18, v44
	v_fma_f32 v108, v30, v43, -v18
	v_mul_f32_e32 v18, v29, v105
	v_fma_f32 v75, v40, v104, -v18
	;; [unrolled: 2-line block ×3, first 2 shown]
	v_mul_f32_e32 v87, v120, v107
	v_fmac_f32_e32 v87, v24, v106
	v_sub_f32_e32 v24, v128, v71
	s_waitcnt vmcnt(2)
	v_mul_f32_e32 v90, v32, v49
	s_waitcnt vmcnt(1)
	v_mul_f32_e32 v18, v27, v113
	v_fma_f32 v76, v35, v112, -v18
	v_mul_f32_e32 v18, v20, v115
	v_fma_f32 v86, v38, v114, -v18
	;; [unrolled: 2-line block ×3, first 2 shown]
	v_fmac_f32_e32 v90, v16, v48
	v_mul_f32_e32 v16, v16, v49
	v_add_f32_e32 v18, v71, v116
	v_mul_f32_e32 v89, v38, v115
	v_fma_f32 v88, v32, v48, -v16
	v_fmac_f32_e32 v89, v20, v114
	v_mul_f32_e32 v82, v26, v47
	v_fmac_f32_e32 v82, v23, v46
	s_waitcnt vmcnt(0)
	v_mul_f32_e32 v83, v31, v37
	v_fmac_f32_e32 v83, v19, v36
	v_mul_f32_e32 v16, v19, v37
	v_fma_f32 v19, -0.5, v18, v10
	v_sub_f32_e32 v18, v129, v94
	v_mov_b32_e32 v20, v19
	v_fmac_f32_e32 v20, 0xbf737871, v18
	v_sub_f32_e32 v23, v72, v117
	v_sub_f32_e32 v25, v121, v116
	v_fmac_f32_e32 v19, 0x3f737871, v18
	v_fmac_f32_e32 v20, 0xbf167918, v23
	v_add_f32_e32 v24, v24, v25
	v_fmac_f32_e32 v19, 0x3f167918, v23
	ds_read2_b32 v[92:93], v1 offset1:125
	v_fmac_f32_e32 v20, 0x3e9e377a, v24
	v_fmac_f32_e32 v19, 0x3e9e377a, v24
	v_add_f32_e32 v24, v128, v121
	v_fma_f32 v24, -0.5, v24, v10
	v_mov_b32_e32 v25, v24
	v_fma_f32 v79, v31, v36, -v16
	v_add_f32_e32 v16, v10, v128
	v_fmac_f32_e32 v25, 0x3f737871, v23
	v_sub_f32_e32 v10, v71, v128
	v_sub_f32_e32 v26, v116, v121
	v_fmac_f32_e32 v24, 0xbf737871, v23
	v_fmac_f32_e32 v25, 0xbf167918, v18
	v_add_f32_e32 v10, v10, v26
	v_fmac_f32_e32 v24, 0x3f167918, v18
	v_fmac_f32_e32 v25, 0x3e9e377a, v10
	;; [unrolled: 1-line block ×3, first 2 shown]
	s_waitcnt lgkmcnt(0)
	v_add_f32_e32 v10, v92, v129
	v_add_f32_e32 v10, v10, v72
	;; [unrolled: 1-line block ×5, first 2 shown]
	v_fma_f32 v26, -0.5, v10, v92
	v_mul_f32_e32 v80, v40, v105
	v_mul_f32_e32 v81, v35, v113
	v_sub_f32_e32 v10, v128, v121
	v_mov_b32_e32 v31, v26
	v_fmac_f32_e32 v80, v29, v104
	v_fmac_f32_e32 v81, v27, v112
	;; [unrolled: 1-line block ×3, first 2 shown]
	v_sub_f32_e32 v18, v71, v116
	v_sub_f32_e32 v27, v129, v72
	;; [unrolled: 1-line block ×3, first 2 shown]
	v_fmac_f32_e32 v26, 0xbf737871, v10
	v_fmac_f32_e32 v31, 0x3f167918, v18
	v_add_f32_e32 v27, v27, v29
	v_fmac_f32_e32 v26, 0xbf167918, v18
	v_fmac_f32_e32 v31, 0x3e9e377a, v27
	v_fmac_f32_e32 v26, 0x3e9e377a, v27
	v_add_f32_e32 v27, v129, v94
	v_fma_f32 v35, -0.5, v27, v92
	v_mov_b32_e32 v36, v35
	v_fmac_f32_e32 v36, 0xbf737871, v18
	v_fmac_f32_e32 v35, 0x3f737871, v18
	;; [unrolled: 1-line block ×4, first 2 shown]
	v_add_f32_e32 v10, v126, v50
	v_add_f32_e32 v10, v10, v73
	v_sub_f32_e32 v27, v72, v129
	v_sub_f32_e32 v29, v117, v94
	v_add_f32_e32 v10, v10, v118
	v_add_f32_e32 v27, v27, v29
	;; [unrolled: 1-line block ×4, first 2 shown]
	v_fmac_f32_e32 v36, 0x3e9e377a, v27
	v_fmac_f32_e32 v35, 0x3e9e377a, v27
	v_fma_f32 v27, -0.5, v10, v126
	v_sub_f32_e32 v10, v51, v17
	v_mov_b32_e32 v29, v27
	v_fma_f32 v41, v41, v110, -v33
	v_fmac_f32_e32 v29, 0xbf737871, v10
	v_sub_f32_e32 v30, v74, v21
	v_sub_f32_e32 v32, v50, v73
	;; [unrolled: 1-line block ×3, first 2 shown]
	v_fmac_f32_e32 v27, 0x3f737871, v10
	v_fmac_f32_e32 v29, 0xbf167918, v30
	v_add_f32_e32 v32, v32, v33
	v_fmac_f32_e32 v27, 0x3f167918, v30
	v_fmac_f32_e32 v29, 0x3e9e377a, v32
	v_fmac_f32_e32 v27, 0x3e9e377a, v32
	v_add_f32_e32 v32, v50, v28
	v_fmac_f32_e32 v126, -0.5, v32
	v_mov_b32_e32 v37, v126
	v_fmac_f32_e32 v37, 0x3f737871, v30
	v_fmac_f32_e32 v126, 0xbf737871, v30
	;; [unrolled: 1-line block ×4, first 2 shown]
	v_add_f32_e32 v10, v127, v51
	v_add_f32_e32 v10, v10, v74
	;; [unrolled: 1-line block ×5, first 2 shown]
	v_sub_f32_e32 v32, v73, v50
	v_sub_f32_e32 v33, v118, v28
	v_fma_f32 v30, -0.5, v10, v127
	v_add_f32_e32 v32, v32, v33
	v_sub_f32_e32 v10, v50, v28
	v_mov_b32_e32 v28, v30
	v_fmac_f32_e32 v37, 0x3e9e377a, v32
	v_fmac_f32_e32 v126, 0x3e9e377a, v32
	;; [unrolled: 1-line block ×3, first 2 shown]
	v_sub_f32_e32 v32, v73, v118
	v_sub_f32_e32 v33, v51, v74
	;; [unrolled: 1-line block ×3, first 2 shown]
	v_fmac_f32_e32 v30, 0xbf737871, v10
	v_fmac_f32_e32 v28, 0x3f167918, v32
	v_add_f32_e32 v33, v33, v40
	v_fmac_f32_e32 v30, 0xbf167918, v32
	v_fmac_f32_e32 v28, 0x3e9e377a, v33
	;; [unrolled: 1-line block ×3, first 2 shown]
	v_add_f32_e32 v33, v51, v17
	v_fmac_f32_e32 v127, -0.5, v33
	v_mov_b32_e32 v40, v127
	v_fmac_f32_e32 v40, 0xbf737871, v32
	v_sub_f32_e32 v33, v74, v51
	v_sub_f32_e32 v17, v21, v17
	v_fmac_f32_e32 v127, 0x3f737871, v32
	v_fmac_f32_e32 v40, 0x3f167918, v10
	v_add_f32_e32 v17, v33, v17
	v_fmac_f32_e32 v127, 0xbf167918, v10
	v_fmac_f32_e32 v40, 0x3e9e377a, v17
	;; [unrolled: 1-line block ×3, first 2 shown]
	v_mul_f32_e32 v17, 0xbf167918, v28
	v_add_f32_e32 v16, v16, v71
	v_fmac_f32_e32 v17, 0x3f4f1bbd, v29
	v_add_f32_e32 v16, v16, v116
	v_add_f32_e32 v44, v20, v17
	v_mul_f32_e32 v46, 0xbf737871, v127
	v_mul_f32_e32 v48, 0x3f4f1bbd, v28
	v_sub_f32_e32 v28, v20, v17
	v_add_f32_e32 v17, v95, v96
	v_add_f32_e32 v16, v16, v121
	v_mul_f32_e32 v21, 0xbf737871, v40
	v_fmac_f32_e32 v46, 0xbe9e377a, v126
	v_mul_f32_e32 v73, 0xbf4f1bbd, v30
	v_fma_f32 v17, -0.5, v17, v11
	v_add_f32_e32 v43, v16, v18
	v_fmac_f32_e32 v21, 0x3e9e377a, v37
	v_add_f32_e32 v33, v24, v46
	v_mul_f32_e32 v47, 0xbf167918, v30
	v_fmac_f32_e32 v73, 0x3f167918, v27
	v_sub_f32_e32 v30, v16, v18
	v_sub_f32_e32 v18, v24, v46
	;; [unrolled: 1-line block ×3, first 2 shown]
	v_mov_b32_e32 v24, v17
	v_add_f32_e32 v32, v25, v21
	v_fmac_f32_e32 v47, 0xbf4f1bbd, v27
	v_add_f32_e32 v71, v23, v38
	v_fmac_f32_e32 v48, 0x3f167918, v29
	v_add_f32_e32 v27, v26, v73
	v_sub_f32_e32 v29, v25, v21
	v_sub_f32_e32 v49, v23, v38
	;; [unrolled: 1-line block ×3, first 2 shown]
	v_fmac_f32_e32 v24, 0xbf737871, v20
	v_sub_f32_e32 v21, v98, v97
	v_sub_f32_e32 v23, v124, v95
	;; [unrolled: 1-line block ×3, first 2 shown]
	v_fmac_f32_e32 v17, 0x3f737871, v20
	v_fmac_f32_e32 v24, 0xbf167918, v21
	v_add_f32_e32 v23, v23, v26
	v_fmac_f32_e32 v17, 0x3f167918, v21
	v_fmac_f32_e32 v24, 0x3e9e377a, v23
	;; [unrolled: 1-line block ×3, first 2 shown]
	v_add_f32_e32 v23, v124, v100
	v_add_f32_e32 v16, v11, v124
	v_fmac_f32_e32 v11, -0.5, v23
	v_mov_b32_e32 v26, v11
	v_fmac_f32_e32 v26, 0x3f737871, v21
	v_fmac_f32_e32 v11, 0xbf737871, v21
	;; [unrolled: 1-line block ×4, first 2 shown]
	v_add_f32_e32 v20, v93, v130
	v_add_f32_e32 v20, v20, v98
	;; [unrolled: 1-line block ×8, first 2 shown]
	v_sub_f32_e32 v19, v19, v47
	v_sub_f32_e32 v47, v31, v48
	v_add_f32_e32 v16, v16, v96
	v_sub_f32_e32 v23, v95, v124
	v_sub_f32_e32 v31, v96, v100
	v_fma_f32 v94, -0.5, v20, v93
	v_add_f32_e32 v16, v16, v100
	v_add_f32_e32 v23, v23, v31
	v_sub_f32_e32 v20, v124, v100
	v_mov_b32_e32 v100, v94
	v_fmac_f32_e32 v26, 0x3e9e377a, v23
	v_fmac_f32_e32 v11, 0x3e9e377a, v23
	;; [unrolled: 1-line block ×3, first 2 shown]
	v_sub_f32_e32 v21, v95, v96
	v_sub_f32_e32 v23, v130, v98
	;; [unrolled: 1-line block ×3, first 2 shown]
	v_fmac_f32_e32 v94, 0xbf737871, v20
	v_fmac_f32_e32 v100, 0x3f167918, v21
	v_add_f32_e32 v23, v23, v31
	v_fmac_f32_e32 v94, 0xbf167918, v21
	v_fmac_f32_e32 v100, 0x3e9e377a, v23
	;; [unrolled: 1-line block ×3, first 2 shown]
	v_add_f32_e32 v23, v130, v41
	v_fmac_f32_e32 v93, -0.5, v23
	v_mov_b32_e32 v95, v93
	v_fmac_f32_e32 v95, 0xbf737871, v21
	v_fmac_f32_e32 v93, 0x3f737871, v21
	v_mul_f32_e32 v40, 0x3e9e377a, v40
	v_fmac_f32_e32 v95, 0x3f167918, v20
	v_fmac_f32_e32 v93, 0xbf167918, v20
	v_add_f32_e32 v20, v85, v99
	v_fmac_f32_e32 v40, 0x3f737871, v37
	v_mul_f32_e32 v37, 0xbe9e377a, v127
	v_add_f32_e32 v20, v20, v102
	v_fmac_f32_e32 v37, 0x3f737871, v126
	v_add_f32_e32 v20, v20, v101
	v_add_f32_e32 v51, v35, v37
	v_sub_f32_e32 v25, v35, v37
	v_sub_f32_e32 v23, v98, v130
	;; [unrolled: 1-line block ×3, first 2 shown]
	v_add_f32_e32 v35, v20, v103
	v_add_f32_e32 v20, v102, v101
	;; [unrolled: 1-line block ×3, first 2 shown]
	v_fma_f32 v20, -0.5, v20, v85
	v_fmac_f32_e32 v95, 0x3e9e377a, v23
	v_fmac_f32_e32 v93, 0x3e9e377a, v23
	v_sub_f32_e32 v21, v39, v108
	v_mov_b32_e32 v23, v20
	v_add_f32_e32 v50, v36, v40
	v_sub_f32_e32 v48, v36, v40
	v_fmac_f32_e32 v23, 0xbf737871, v21
	v_sub_f32_e32 v31, v34, v22
	v_sub_f32_e32 v36, v99, v102
	;; [unrolled: 1-line block ×3, first 2 shown]
	v_fmac_f32_e32 v20, 0x3f737871, v21
	v_fmac_f32_e32 v23, 0xbf167918, v31
	v_add_f32_e32 v36, v36, v37
	v_fmac_f32_e32 v20, 0x3f167918, v31
	v_fmac_f32_e32 v23, 0x3e9e377a, v36
	v_fmac_f32_e32 v20, 0x3e9e377a, v36
	v_add_f32_e32 v36, v99, v103
	v_fmac_f32_e32 v85, -0.5, v36
	v_mov_b32_e32 v36, v85
	v_fmac_f32_e32 v36, 0x3f737871, v31
	v_fmac_f32_e32 v85, 0xbf737871, v31
	;; [unrolled: 1-line block ×4, first 2 shown]
	v_add_f32_e32 v21, v91, v39
	v_add_f32_e32 v21, v21, v34
	v_sub_f32_e32 v37, v102, v99
	v_sub_f32_e32 v38, v101, v103
	v_add_f32_e32 v21, v21, v22
	v_add_f32_e32 v37, v37, v38
	;; [unrolled: 1-line block ×4, first 2 shown]
	v_fmac_f32_e32 v36, 0x3e9e377a, v37
	v_fmac_f32_e32 v85, 0x3e9e377a, v37
	v_fma_f32 v37, -0.5, v21, v91
	v_sub_f32_e32 v21, v99, v103
	v_mov_b32_e32 v74, v37
	v_fmac_f32_e32 v74, 0x3f737871, v21
	v_sub_f32_e32 v31, v102, v101
	v_sub_f32_e32 v38, v39, v34
	;; [unrolled: 1-line block ×3, first 2 shown]
	v_fmac_f32_e32 v37, 0xbf737871, v21
	v_fmac_f32_e32 v74, 0x3f167918, v31
	v_add_f32_e32 v38, v38, v40
	v_fmac_f32_e32 v37, 0xbf167918, v31
	v_fmac_f32_e32 v74, 0x3e9e377a, v38
	;; [unrolled: 1-line block ×3, first 2 shown]
	v_add_f32_e32 v38, v39, v108
	v_fmac_f32_e32 v91, -0.5, v38
	v_mov_b32_e32 v97, v91
	v_sub_f32_e32 v34, v34, v39
	v_sub_f32_e32 v22, v22, v108
	v_fmac_f32_e32 v91, 0x3f737871, v31
	v_add_f32_e32 v22, v34, v22
	v_fmac_f32_e32 v91, 0xbf167918, v21
	v_fmac_f32_e32 v97, 0xbf737871, v31
	;; [unrolled: 1-line block ×4, first 2 shown]
	v_mul_f32_e32 v98, 0xbf737871, v91
	v_mul_f32_e32 v91, 0xbe9e377a, v91
	v_fmac_f32_e32 v97, 0x3e9e377a, v22
	v_mul_f32_e32 v22, 0xbf167918, v74
	v_mul_f32_e32 v101, 0x3f4f1bbd, v74
	v_fmac_f32_e32 v91, 0x3f737871, v85
	v_add_f32_e32 v40, v16, v35
	v_fmac_f32_e32 v22, 0x3f4f1bbd, v23
	v_mul_f32_e32 v34, 0xbf737871, v97
	v_fmac_f32_e32 v98, 0xbe9e377a, v85
	v_mul_f32_e32 v99, 0xbf167918, v37
	v_fmac_f32_e32 v101, 0x3f167918, v23
	v_add_f32_e32 v23, v93, v91
	v_mul_f32_e32 v85, 0xbf4f1bbd, v37
	v_sub_f32_e32 v37, v16, v35
	v_sub_f32_e32 v16, v93, v91
	v_add_f32_e32 v91, v87, v89
	v_fmac_f32_e32 v34, 0x3e9e377a, v36
	v_mul_f32_e32 v97, 0x3e9e377a, v97
	v_fma_f32 v91, -0.5, v91, v6
	v_add_f32_e32 v38, v26, v34
	v_fmac_f32_e32 v99, 0xbf4f1bbd, v20
	v_add_f32_e32 v73, v92, v96
	v_fmac_f32_e32 v97, 0x3f737871, v36
	v_fmac_f32_e32 v85, 0x3f167918, v20
	v_sub_f32_e32 v36, v26, v34
	v_sub_f32_e32 v26, v92, v96
	;; [unrolled: 1-line block ×3, first 2 shown]
	v_mov_b32_e32 v93, v91
	v_add_f32_e32 v41, v24, v22
	v_add_f32_e32 v31, v17, v99
	;; [unrolled: 1-line block ×4, first 2 shown]
	v_sub_f32_e32 v35, v24, v22
	v_sub_f32_e32 v34, v17, v99
	v_sub_f32_e32 v24, v95, v97
	v_sub_f32_e32 v17, v94, v85
	v_fmac_f32_e32 v93, 0xbf737871, v92
	v_sub_f32_e32 v94, v84, v86
	v_sub_f32_e32 v95, v77, v87
	;; [unrolled: 1-line block ×3, first 2 shown]
	v_fmac_f32_e32 v91, 0x3f737871, v92
	v_fmac_f32_e32 v93, 0xbf167918, v94
	v_add_f32_e32 v95, v95, v96
	v_fmac_f32_e32 v91, 0x3f167918, v94
	v_fmac_f32_e32 v93, 0x3e9e377a, v95
	;; [unrolled: 1-line block ×3, first 2 shown]
	v_add_f32_e32 v95, v77, v90
	v_add_f32_e32 v85, v6, v77
	v_fmac_f32_e32 v6, -0.5, v95
	v_mov_b32_e32 v95, v6
	v_fmac_f32_e32 v95, 0x3f737871, v94
	v_sub_f32_e32 v96, v87, v77
	v_sub_f32_e32 v97, v89, v90
	v_fmac_f32_e32 v6, 0xbf737871, v94
	v_add_f32_e32 v94, v84, v86
	v_add_f32_e32 v85, v85, v87
	v_fmac_f32_e32 v95, 0xbf167918, v92
	v_add_f32_e32 v96, v96, v97
	v_fmac_f32_e32 v6, 0x3f167918, v92
	v_fma_f32 v94, -0.5, v94, v8
	v_add_f32_e32 v85, v85, v89
	v_fmac_f32_e32 v95, 0x3e9e377a, v96
	v_fmac_f32_e32 v6, 0x3e9e377a, v96
	v_sub_f32_e32 v77, v77, v90
	v_mov_b32_e32 v96, v94
	v_add_f32_e32 v85, v85, v90
	v_fmac_f32_e32 v96, 0x3f737871, v77
	v_sub_f32_e32 v87, v87, v89
	v_sub_f32_e32 v89, v45, v84
	;; [unrolled: 1-line block ×3, first 2 shown]
	v_fmac_f32_e32 v94, 0xbf737871, v77
	v_fmac_f32_e32 v96, 0x3f167918, v87
	v_add_f32_e32 v89, v89, v90
	v_fmac_f32_e32 v94, 0xbf167918, v87
	v_fmac_f32_e32 v96, 0x3e9e377a, v89
	;; [unrolled: 1-line block ×3, first 2 shown]
	v_add_f32_e32 v89, v45, v88
	v_add_f32_e32 v92, v8, v45
	v_fmac_f32_e32 v8, -0.5, v89
	v_mov_b32_e32 v97, v8
	v_add_f32_e32 v92, v92, v84
	v_fmac_f32_e32 v97, 0xbf737871, v87
	v_sub_f32_e32 v45, v84, v45
	v_sub_f32_e32 v84, v86, v88
	v_fmac_f32_e32 v8, 0x3f737871, v87
	v_fmac_f32_e32 v97, 0x3f167918, v77
	v_add_f32_e32 v45, v45, v84
	v_fmac_f32_e32 v8, 0xbf167918, v77
	v_fmac_f32_e32 v97, 0x3e9e377a, v45
	;; [unrolled: 1-line block ×3, first 2 shown]
	v_add_f32_e32 v45, v7, v80
	v_add_f32_e32 v45, v45, v81
	;; [unrolled: 1-line block ×5, first 2 shown]
	v_fma_f32 v90, -0.5, v45, v7
	v_add_f32_e32 v92, v92, v86
	v_sub_f32_e32 v45, v75, v79
	v_mov_b32_e32 v77, v90
	v_add_f32_e32 v92, v92, v88
	v_fmac_f32_e32 v77, 0xbf737871, v45
	v_sub_f32_e32 v86, v76, v78
	v_sub_f32_e32 v87, v80, v81
	;; [unrolled: 1-line block ×3, first 2 shown]
	v_fmac_f32_e32 v90, 0x3f737871, v45
	v_fmac_f32_e32 v77, 0xbf167918, v86
	v_add_f32_e32 v87, v87, v88
	v_fmac_f32_e32 v90, 0x3f167918, v86
	v_fmac_f32_e32 v77, 0x3e9e377a, v87
	;; [unrolled: 1-line block ×3, first 2 shown]
	v_add_f32_e32 v87, v80, v83
	v_fmac_f32_e32 v7, -0.5, v87
	v_add_f32_e32 v39, v11, v98
	v_sub_f32_e32 v11, v11, v98
	v_mov_b32_e32 v98, v7
	v_fmac_f32_e32 v98, 0x3f737871, v86
	v_fmac_f32_e32 v7, 0xbf737871, v86
	;; [unrolled: 1-line block ×4, first 2 shown]
	v_add_f32_e32 v45, v9, v75
	v_add_f32_e32 v45, v45, v76
	;; [unrolled: 1-line block ×6, first 2 shown]
	v_sub_f32_e32 v22, v100, v101
	v_fma_f32 v100, -0.5, v45, v9
	v_sub_f32_e32 v87, v81, v80
	v_sub_f32_e32 v45, v80, v83
	v_mov_b32_e32 v80, v100
	v_sub_f32_e32 v88, v82, v83
	v_fmac_f32_e32 v80, 0x3f737871, v45
	v_sub_f32_e32 v81, v81, v82
	v_sub_f32_e32 v82, v75, v76
	;; [unrolled: 1-line block ×3, first 2 shown]
	v_fmac_f32_e32 v100, 0xbf737871, v45
	v_fmac_f32_e32 v80, 0x3f167918, v81
	v_add_f32_e32 v82, v82, v83
	v_fmac_f32_e32 v100, 0xbf167918, v81
	v_fmac_f32_e32 v80, 0x3e9e377a, v82
	;; [unrolled: 1-line block ×3, first 2 shown]
	v_add_f32_e32 v82, v75, v79
	v_fmac_f32_e32 v9, -0.5, v82
	v_mov_b32_e32 v82, v9
	v_fmac_f32_e32 v82, 0xbf737871, v81
	v_sub_f32_e32 v75, v76, v75
	v_sub_f32_e32 v76, v78, v79
	v_fmac_f32_e32 v82, 0x3f167918, v45
	v_add_f32_e32 v75, v75, v76
	v_fmac_f32_e32 v9, 0x3f737871, v81
	v_add_f32_e32 v87, v87, v88
	v_fmac_f32_e32 v82, 0x3e9e377a, v75
	v_fmac_f32_e32 v9, 0xbf167918, v45
	v_fmac_f32_e32 v98, 0x3e9e377a, v87
	v_fmac_f32_e32 v9, 0x3e9e377a, v75
	v_mul_f32_e32 v83, 0xbf737871, v82
	v_mul_f32_e32 v82, 0x3e9e377a, v82
	v_fmac_f32_e32 v7, 0x3e9e377a, v87
	v_fmac_f32_e32 v83, 0x3e9e377a, v98
	v_fmac_f32_e32 v82, 0x3f737871, v98
	v_mul_f32_e32 v98, 0xbe9e377a, v9
	v_fmac_f32_e32 v98, 0x3f737871, v7
	v_add_f32_e32 v86, v95, v83
	v_mul_f32_e32 v101, 0xbf737871, v9
	v_mul_f32_e32 v102, 0xbf167918, v100
	v_add_f32_e32 v78, v8, v98
	v_sub_f32_e32 v9, v95, v83
	v_sub_f32_e32 v83, v8, v98
	v_mov_b32_e32 v8, 0xbb8
	v_fmac_f32_e32 v102, 0xbf4f1bbd, v90
	v_mul_f32_e32 v100, 0xbf4f1bbd, v100
	v_cndmask_b32_e32 v8, 0, v8, vcc
	v_add_f32_e32 v45, v91, v102
	v_fmac_f32_e32 v100, 0x3f167918, v90
	v_sub_f32_e32 v90, v91, v102
	v_add3_u32 v91, 0, v8, v15
	v_mul_f32_e32 v81, 0xbf167918, v80
	v_add_f32_e32 v75, v92, v99
	v_mul_f32_e32 v103, 0x3f4f1bbd, v80
	v_sub_f32_e32 v80, v92, v99
	v_add_u32_e32 v92, 0x400, v91
	v_mul_u32_u24_e32 v8, 0xbb8, v14
	v_fmac_f32_e32 v81, 0x3f4f1bbd, v77
	v_fmac_f32_e32 v103, 0x3f167918, v77
	s_barrier
	ds_write2_b32 v91, v43, v44 offset1:75
	ds_write2_b32 v91, v32, v33 offset0:150 offset1:225
	ds_write2_b32 v92, v10, v30 offset0:44 offset1:119
	v_add3_u32 v4, 0, v8, v4
	v_mul_u32_u24_e32 v8, 0xbb8, v12
	v_lshlrev_b32_e32 v10, 2, v13
	v_add_f32_e32 v87, v85, v84
	v_add_f32_e32 v89, v93, v81
	v_fmac_f32_e32 v101, 0xbe9e377a, v7
	v_add_f32_e32 v76, v96, v103
	v_add_f32_e32 v77, v97, v82
	;; [unrolled: 1-line block ×3, first 2 shown]
	v_sub_f32_e32 v85, v85, v84
	v_sub_f32_e32 v7, v93, v81
	;; [unrolled: 1-line block ×5, first 2 shown]
	v_add_u32_e32 v93, 0x600, v91
	v_add_u32_e32 v94, 0x800, v91
	v_add_u32_e32 v95, 0x400, v4
	v_add_u32_e32 v96, 0x600, v4
	v_add_u32_e32 v97, 0x800, v4
	v_add3_u32 v98, 0, v8, v10
	v_add_f32_e32 v88, v6, v101
	ds_write2_b32 v93, v28, v29 offset0:66 offset1:141
	ds_write2_b32 v94, v18, v19 offset0:88 offset1:163
	ds_write2_b32 v4, v40, v41 offset1:75
	ds_write2_b32 v4, v38, v39 offset0:150 offset1:225
	ds_write2_b32 v95, v31, v37 offset0:44 offset1:119
	;; [unrolled: 1-line block ×4, first 2 shown]
	ds_write2_b32 v98, v87, v89 offset1:75
	ds_write2_b32 v98, v86, v88 offset0:150 offset1:225
	v_add_u32_e32 v86, 0x400, v98
	v_sub_f32_e32 v6, v6, v101
	ds_write2_b32 v86, v45, v85 offset0:44 offset1:119
	v_add_u32_e32 v85, 0x600, v98
	v_add_u32_e32 v87, 0x800, v98
	ds_write2_b32 v85, v7, v9 offset0:66 offset1:141
	ds_write2_b32 v87, v6, v90 offset0:88 offset1:163
	s_waitcnt lgkmcnt(0)
	s_barrier
	ds_read2_b32 v[6:7], v1 offset1:125
	ds_read2_b32 v[8:9], v57 offset0:110 offset1:235
	ds_read2_b32 v[14:15], v59 offset0:92 offset1:217
	;; [unrolled: 1-line block ×14, first 2 shown]
	s_waitcnt lgkmcnt(0)
	s_barrier
	ds_write2_b32 v91, v71, v72 offset1:75
	ds_write2_b32 v91, v50, v51 offset0:150 offset1:225
	ds_write2_b32 v92, v27, v49 offset0:44 offset1:119
	ds_write2_b32 v93, v47, v48 offset0:66 offset1:141
	ds_write2_b32 v94, v25, v46 offset0:88 offset1:163
	ds_write2_b32 v4, v73, v74 offset1:75
	ds_write2_b32 v4, v21, v23 offset0:150 offset1:225
	ds_write2_b32 v95, v20, v26 offset0:44 offset1:119
	ds_write2_b32 v96, v22, v24 offset0:66 offset1:141
	ds_write2_b32 v97, v16, v17 offset0:88 offset1:163
	;; [unrolled: 5-line block ×3, first 2 shown]
	s_waitcnt lgkmcnt(0)
	s_barrier
	s_and_saveexec_b64 s[6:7], s[0:1]
	s_cbranch_execz .LBB0_13
; %bb.12:
	v_lshlrev_b32_e32 v4, 2, v60
	v_lshlrev_b64 v[16:17], 3, v[4:5]
	v_mov_b32_e32 v71, s9
	v_add_co_u32_e32 v4, vcc, s8, v16
	v_addc_co_u32_e32 v17, vcc, v71, v17, vcc
	v_add_co_u32_e32 v16, vcc, 0x1758, v4
	s_mov_b64 s[0:1], vcc
	v_add_co_u32_e32 v20, vcc, 0x1000, v4
	v_addc_co_u32_e32 v21, vcc, 0, v17, vcc
	global_load_dwordx4 v[20:23], v[20:21], off offset:1880
	v_addc_co_u32_e64 v17, vcc, 0, v17, s[0:1]
	global_load_dwordx4 v[24:27], v[16:17], off offset:16
	v_lshlrev_b32_e32 v4, 2, v61
	v_lshlrev_b64 v[16:17], 3, v[4:5]
	s_movk_i32 s0, 0x1000
	v_add_co_u32_e32 v4, vcc, s8, v16
	ds_read2_b32 v[50:51], v69 offset0:80 offset1:205
	ds_read2_b32 v[76:77], v66 offset0:98 offset1:223
	;; [unrolled: 1-line block ×5, first 2 shown]
	v_addc_co_u32_e32 v65, vcc, v71, v17, vcc
	v_add_co_u32_e32 v16, vcc, s0, v4
	v_addc_co_u32_e32 v17, vcc, 0, v65, vcc
	global_load_dwordx4 v[46:49], v[16:17], off offset:1880
	s_movk_i32 s1, 0x1758
	v_add_co_u32_e32 v16, vcc, s1, v4
	v_addc_co_u32_e32 v17, vcc, 0, v65, vcc
	global_load_dwordx4 v[65:68], v[16:17], off offset:16
	ds_read2_b32 v[84:85], v55 offset0:68 offset1:193
	ds_read2_b32 v[86:87], v53 offset0:50 offset1:175
	s_movk_i32 s5, 0x6000
	s_mov_b32 s6, 0x57619f1
	s_waitcnt vmcnt(3)
	v_mul_f32_e32 v16, v37, v21
	v_mul_f32_e32 v4, v43, v23
	s_waitcnt lgkmcnt(5)
	v_fma_f32 v16, v20, v77, -v16
	s_waitcnt vmcnt(2)
	v_mul_f32_e32 v17, v41, v25
	v_mul_f32_e32 v69, v39, v27
	s_waitcnt lgkmcnt(3)
	v_mul_f32_e32 v75, v81, v27
	v_mul_f32_e32 v72, v51, v23
	;; [unrolled: 1-line block ×3, first 2 shown]
	v_fma_f32 v4, v22, v51, -v4
	v_fma_f32 v27, v24, v79, -v17
	;; [unrolled: 1-line block ×3, first 2 shown]
	v_fmac_f32_e32 v75, v39, v26
	s_waitcnt lgkmcnt(2)
	v_add_f32_e32 v39, v16, v83
	v_mul_f32_e32 v73, v79, v25
	v_fmac_f32_e32 v72, v43, v22
	v_fmac_f32_e32 v74, v37, v20
	v_sub_f32_e32 v17, v4, v16
	v_sub_f32_e32 v22, v16, v4
	;; [unrolled: 1-line block ×3, first 2 shown]
	v_add_f32_e32 v37, v4, v27
	v_sub_f32_e32 v77, v4, v27
	v_add_f32_e32 v4, v4, v39
	v_fmac_f32_e32 v73, v41, v24
	v_sub_f32_e32 v20, v27, v51
	v_add_f32_e32 v21, v16, v51
	v_sub_f32_e32 v69, v16, v51
	v_add_f32_e32 v16, v74, v75
	v_add_f32_e32 v79, v22, v25
	v_fma_f32 v25, -0.5, v37, v83
	v_add_f32_e32 v4, v27, v4
	v_sub_f32_e32 v26, v74, v75
	v_add_f32_e32 v20, v17, v20
	v_fma_f32 v23, -0.5, v21, v83
	v_fma_f32 v22, -0.5, v16, v45
	v_mov_b32_e32 v17, v25
	v_add_f32_e32 v27, v51, v4
	v_sub_f32_e32 v4, v74, v72
	v_sub_f32_e32 v16, v75, v73
	;; [unrolled: 1-line block ×3, first 2 shown]
	v_mov_b32_e32 v21, v23
	v_fmac_f32_e32 v25, 0x3f737871, v26
	v_fmac_f32_e32 v17, 0xbf737871, v26
	v_add_f32_e32 v4, v4, v16
	v_add_f32_e32 v16, v72, v73
	v_fmac_f32_e32 v23, 0xbf737871, v24
	v_fmac_f32_e32 v21, 0x3f737871, v24
	;; [unrolled: 1-line block ×4, first 2 shown]
	v_fma_f32 v24, -0.5, v16, v45
	v_mov_b32_e32 v16, v24
	v_fmac_f32_e32 v16, 0x3f737871, v69
	v_fmac_f32_e32 v24, 0xbf737871, v69
	;; [unrolled: 1-line block ×6, first 2 shown]
	v_add_f32_e32 v4, v45, v74
	v_add_f32_e32 v4, v72, v4
	v_fmac_f32_e32 v23, 0x3f167918, v26
	v_fmac_f32_e32 v21, 0xbf167918, v26
	v_add_f32_e32 v4, v4, v73
	v_fmac_f32_e32 v23, 0x3e9e377a, v20
	v_fmac_f32_e32 v21, 0x3e9e377a, v20
	v_mov_b32_e32 v20, v22
	v_add_f32_e32 v26, v4, v75
	s_waitcnt vmcnt(1)
	v_mul_f32_e32 v4, v42, v49
	v_fmac_f32_e32 v20, 0xbf737871, v77
	v_fmac_f32_e32 v22, 0x3f737871, v77
	v_fma_f32 v77, v48, v50, -v4
	v_mul_f32_e32 v4, v36, v47
	v_fmac_f32_e32 v25, 0x3e9e377a, v79
	v_fmac_f32_e32 v17, 0x3e9e377a, v79
	v_fma_f32 v79, v46, v76, -v4
	v_lshlrev_b32_e32 v4, 2, v70
	v_fmac_f32_e32 v20, 0x3f167918, v69
	v_fmac_f32_e32 v22, 0xbf167918, v69
	v_lshlrev_b64 v[69:70], 3, v[4:5]
	v_sub_f32_e32 v41, v72, v74
	v_sub_f32_e32 v43, v73, v75
	v_add_f32_e32 v37, v41, v43
	v_add_co_u32_e32 v4, vcc, s8, v69
	v_fmac_f32_e32 v20, 0x3e9e377a, v37
	v_fmac_f32_e32 v22, 0x3e9e377a, v37
	v_addc_co_u32_e32 v37, vcc, v71, v70, vcc
	v_add_co_u32_e32 v69, vcc, s0, v4
	v_addc_co_u32_e32 v70, vcc, 0, v37, vcc
	global_load_dwordx4 v[72:75], v[69:70], off offset:1880
	s_waitcnt vmcnt(1)
	v_mul_f32_e32 v41, v40, v66
	v_fma_f32 v69, v65, v78, -v41
	v_mul_f32_e32 v41, v38, v68
	v_fma_f32 v70, v67, v80, -v41
	v_sub_f32_e32 v39, v77, v79
	v_sub_f32_e32 v41, v69, v70
	v_add_f32_e32 v43, v39, v41
	v_mul_f32_e32 v81, v50, v49
	v_mul_f32_e32 v66, v78, v66
	v_add_f32_e32 v41, v79, v70
	v_add_co_u32_e32 v39, vcc, s1, v4
	v_mul_f32_e32 v4, v76, v47
	v_fmac_f32_e32 v81, v42, v48
	v_fmac_f32_e32 v66, v40, v65
	v_fma_f32 v41, -0.5, v41, v82
	v_fmac_f32_e32 v4, v36, v46
	v_mul_f32_e32 v46, v80, v68
	v_sub_f32_e32 v42, v81, v66
	v_addc_co_u32_e32 v40, vcc, 0, v37, vcc
	v_mov_b32_e32 v37, v41
	v_fmac_f32_e32 v46, v38, v67
	global_load_dwordx4 v[48:51], v[39:40], off offset:16
	v_fmac_f32_e32 v37, 0x3f737871, v42
	v_sub_f32_e32 v36, v4, v46
	v_fmac_f32_e32 v41, 0xbf737871, v42
	v_sub_f32_e32 v38, v79, v77
	v_sub_f32_e32 v39, v70, v69
	v_fmac_f32_e32 v37, 0xbf167918, v36
	v_fmac_f32_e32 v41, 0x3f167918, v36
	v_add_f32_e32 v38, v38, v39
	v_add_f32_e32 v39, v77, v69
	v_fmac_f32_e32 v37, 0x3e9e377a, v43
	v_fmac_f32_e32 v41, 0x3e9e377a, v43
	v_fma_f32 v43, -0.5, v39, v82
	v_mov_b32_e32 v39, v43
	v_fmac_f32_e32 v39, 0xbf737871, v36
	v_fmac_f32_e32 v43, 0x3f737871, v36
	v_add_f32_e32 v36, v79, v82
	v_add_f32_e32 v36, v77, v36
	v_fmac_f32_e32 v39, 0xbf167918, v42
	v_fmac_f32_e32 v43, 0x3f167918, v42
	v_add_f32_e32 v36, v69, v36
	v_fmac_f32_e32 v39, 0x3e9e377a, v38
	v_fmac_f32_e32 v43, 0x3e9e377a, v38
	v_add_f32_e32 v45, v70, v36
	v_sub_f32_e32 v36, v81, v4
	v_sub_f32_e32 v38, v66, v46
	v_add_f32_e32 v38, v36, v38
	v_add_f32_e32 v36, v4, v46
	v_fma_f32 v40, -0.5, v36, v44
	v_sub_f32_e32 v65, v77, v69
	v_mov_b32_e32 v36, v40
	v_sub_f32_e32 v47, v79, v70
	v_fmac_f32_e32 v36, 0xbf737871, v65
	v_fmac_f32_e32 v40, 0x3f737871, v65
	;; [unrolled: 1-line block ×4, first 2 shown]
	ds_read2_b32 v[68:69], v62 offset0:86 offset1:211
	v_fmac_f32_e32 v36, 0x3e9e377a, v38
	v_fmac_f32_e32 v40, 0x3e9e377a, v38
	v_sub_f32_e32 v38, v4, v81
	v_add_f32_e32 v4, v44, v4
	ds_read2_b32 v[82:83], v54 offset0:104 offset1:229
	v_sub_f32_e32 v42, v46, v66
	v_add_f32_e32 v4, v81, v4
	v_add_f32_e32 v67, v38, v42
	;; [unrolled: 1-line block ×4, first 2 shown]
	v_fma_f32 v42, -0.5, v38, v44
	v_add_f32_e32 v44, v4, v46
	v_mov_b32_e32 v38, v42
	v_fmac_f32_e32 v38, 0x3f737871, v47
	v_fmac_f32_e32 v42, 0xbf737871, v47
	;; [unrolled: 1-line block ×6, first 2 shown]
	s_waitcnt vmcnt(1)
	v_mul_f32_e32 v4, v35, v75
	s_waitcnt lgkmcnt(1)
	v_fma_f32 v54, v74, v69, -v4
	v_mul_f32_e32 v4, v31, v73
	s_waitcnt lgkmcnt(0)
	v_fma_f32 v62, v72, v83, -v4
	v_lshlrev_b32_e32 v4, 2, v64
	v_lshlrev_b64 v[46:47], 3, v[4:5]
	v_mul_f32_e32 v80, v69, v75
	v_add_co_u32_e32 v4, vcc, s8, v46
	v_addc_co_u32_e32 v55, vcc, v71, v47, vcc
	v_add_co_u32_e32 v46, vcc, s0, v4
	v_addc_co_u32_e32 v47, vcc, 0, v55, vcc
	global_load_dwordx4 v[64:67], v[46:47], off offset:1880
	ds_read2_b32 v[69:70], v52 offset0:122 offset1:247
	v_sub_f32_e32 v46, v54, v62
	v_fmac_f32_e32 v80, v35, v74
	s_waitcnt vmcnt(1)
	v_mul_f32_e32 v47, v33, v49
	v_fma_f32 v78, v48, v85, -v47
	v_mul_f32_e32 v47, v29, v51
	v_fma_f32 v79, v50, v87, -v47
	v_sub_f32_e32 v47, v78, v79
	v_add_f32_e32 v53, v46, v47
	v_add_co_u32_e32 v46, vcc, s1, v4
	v_add_f32_e32 v35, v62, v79
	v_addc_co_u32_e32 v47, vcc, 0, v55, vcc
	v_mul_f32_e32 v4, v85, v49
	s_waitcnt lgkmcnt(0)
	v_fma_f32 v49, -0.5, v35, v70
	v_mul_f32_e32 v35, v83, v73
	global_load_dwordx4 v[74:77], v[46:47], off offset:16
	v_fmac_f32_e32 v4, v33, v48
	v_fmac_f32_e32 v35, v31, v72
	v_mul_f32_e32 v31, v87, v51
	v_sub_f32_e32 v33, v80, v4
	v_mov_b32_e32 v47, v49
	v_fmac_f32_e32 v31, v29, v50
	v_fmac_f32_e32 v47, 0x3f737871, v33
	v_sub_f32_e32 v29, v35, v31
	v_fmac_f32_e32 v49, 0xbf737871, v33
	v_sub_f32_e32 v46, v62, v54
	v_sub_f32_e32 v48, v79, v78
	v_fmac_f32_e32 v47, 0xbf167918, v29
	v_fmac_f32_e32 v49, 0x3f167918, v29
	v_add_f32_e32 v46, v46, v48
	v_add_f32_e32 v48, v54, v78
	v_fmac_f32_e32 v47, 0x3e9e377a, v53
	v_fmac_f32_e32 v49, 0x3e9e377a, v53
	v_fma_f32 v53, -0.5, v48, v70
	v_mov_b32_e32 v51, v53
	v_fmac_f32_e32 v51, 0xbf737871, v29
	v_fmac_f32_e32 v53, 0x3f737871, v29
	;; [unrolled: 1-line block ×4, first 2 shown]
	v_add_f32_e32 v29, v62, v70
	v_fmac_f32_e32 v51, 0x3e9e377a, v46
	v_fmac_f32_e32 v53, 0x3e9e377a, v46
	v_add_f32_e32 v29, v54, v29
	v_add_f32_e32 v46, v35, v31
	;; [unrolled: 1-line block ×3, first 2 shown]
	v_fma_f32 v48, -0.5, v46, v19
	v_add_f32_e32 v55, v79, v29
	v_sub_f32_e32 v29, v80, v35
	v_sub_f32_e32 v33, v4, v31
	;; [unrolled: 1-line block ×3, first 2 shown]
	v_mov_b32_e32 v46, v48
	v_add_f32_e32 v29, v29, v33
	v_sub_f32_e32 v33, v62, v79
	v_fmac_f32_e32 v46, 0xbf737871, v54
	v_fmac_f32_e32 v48, 0x3f737871, v54
	;; [unrolled: 1-line block ×6, first 2 shown]
	v_sub_f32_e32 v29, v35, v80
	v_sub_f32_e32 v50, v31, v4
	v_add_f32_e32 v29, v29, v50
	v_add_f32_e32 v50, v80, v4
	v_fma_f32 v52, -0.5, v50, v19
	v_add_f32_e32 v19, v19, v35
	v_mov_b32_e32 v50, v52
	v_add_f32_e32 v19, v80, v19
	v_fmac_f32_e32 v50, 0x3f737871, v33
	v_fmac_f32_e32 v52, 0xbf737871, v33
	v_add_f32_e32 v4, v19, v4
	v_fmac_f32_e32 v50, 0x3f167918, v54
	v_fmac_f32_e32 v52, 0xbf167918, v54
	v_add_f32_e32 v54, v4, v31
	s_waitcnt vmcnt(1)
	v_mul_f32_e32 v4, v34, v67
	v_fma_f32 v35, v66, v68, -v4
	v_mul_f32_e32 v4, v30, v65
	v_fma_f32 v33, v64, v82, -v4
	v_lshlrev_b32_e32 v4, 2, v63
	v_lshlrev_b64 v[62:63], 3, v[4:5]
	v_fmac_f32_e32 v50, 0x3e9e377a, v29
	v_add_co_u32_e32 v4, vcc, s8, v62
	v_addc_co_u32_e32 v19, vcc, v71, v63, vcc
	v_add_co_u32_e32 v62, vcc, s0, v4
	v_addc_co_u32_e32 v63, vcc, 0, v19, vcc
	global_load_dwordx4 v[78:81], v[62:63], off offset:1880
	v_fmac_f32_e32 v52, 0x3e9e377a, v29
	v_sub_f32_e32 v29, v35, v33
	v_mul_f32_e32 v67, v68, v67
	v_fmac_f32_e32 v67, v34, v66
	v_mul_f32_e32 v65, v82, v65
	v_fmac_f32_e32 v65, v30, v64
	s_waitcnt vmcnt(1)
	v_mul_f32_e32 v31, v32, v75
	v_fma_f32 v62, v74, v84, -v31
	v_mul_f32_e32 v31, v28, v77
	v_fma_f32 v63, v76, v86, -v31
	v_sub_f32_e32 v31, v62, v63
	v_add_f32_e32 v70, v29, v31
	v_add_f32_e32 v29, v33, v63
	v_fma_f32 v34, -0.5, v29, v69
	v_add_co_u32_e32 v29, vcc, s1, v4
	v_mul_f32_e32 v66, v84, v75
	v_addc_co_u32_e32 v30, vcc, 0, v19, vcc
	v_fmac_f32_e32 v66, v32, v74
	global_load_dwordx4 v[29:32], v[29:30], off offset:16
	v_mul_f32_e32 v4, v86, v77
	v_fmac_f32_e32 v4, v28, v76
	v_sub_f32_e32 v28, v33, v35
	v_sub_f32_e32 v64, v63, v62
	v_add_f32_e32 v28, v28, v64
	v_add_f32_e32 v64, v35, v62
	v_sub_f32_e32 v68, v67, v66
	v_mov_b32_e32 v73, v34
	v_fma_f32 v75, -0.5, v64, v69
	v_fmac_f32_e32 v73, 0x3f737871, v68
	v_sub_f32_e32 v19, v65, v4
	v_fmac_f32_e32 v34, 0xbf737871, v68
	v_mov_b32_e32 v77, v75
	v_fmac_f32_e32 v73, 0xbf167918, v19
	v_fmac_f32_e32 v34, 0x3f167918, v19
	v_fmac_f32_e32 v77, 0xbf737871, v19
	v_fmac_f32_e32 v75, 0x3f737871, v19
	v_add_f32_e32 v19, v33, v69
	v_add_f32_e32 v19, v35, v19
	;; [unrolled: 1-line block ×4, first 2 shown]
	v_sub_f32_e32 v63, v33, v63
	v_add_f32_e32 v33, v65, v4
	v_fma_f32 v33, -0.5, v33, v18
	v_fmac_f32_e32 v77, 0xbf167918, v68
	v_fmac_f32_e32 v75, 0x3f167918, v68
	v_sub_f32_e32 v35, v35, v62
	v_mov_b32_e32 v72, v33
	v_fmac_f32_e32 v77, 0x3e9e377a, v28
	v_fmac_f32_e32 v75, 0x3e9e377a, v28
	v_sub_f32_e32 v28, v67, v65
	v_sub_f32_e32 v64, v66, v4
	v_fmac_f32_e32 v72, 0xbf737871, v35
	v_fmac_f32_e32 v33, 0x3f737871, v35
	v_add_f32_e32 v28, v28, v64
	v_fmac_f32_e32 v72, 0x3f167918, v63
	v_fmac_f32_e32 v33, 0xbf167918, v63
	;; [unrolled: 1-line block ×4, first 2 shown]
	v_sub_f32_e32 v28, v65, v67
	v_sub_f32_e32 v62, v4, v66
	v_add_f32_e32 v28, v28, v62
	v_add_f32_e32 v62, v67, v66
	ds_read2_b32 v[82:83], v59 offset0:92 offset1:217
	v_fma_f32 v74, -0.5, v62, v18
	v_add_f32_e32 v18, v18, v65
	ds_read2_b32 v[84:85], v57 offset0:110 offset1:235
	v_add_f32_e32 v18, v67, v18
	v_mov_b32_e32 v76, v74
	v_add_f32_e32 v18, v18, v66
	v_fmac_f32_e32 v76, 0x3f737871, v63
	v_fmac_f32_e32 v74, 0xbf737871, v63
	v_add_f32_e32 v18, v18, v4
	v_fmac_f32_e32 v76, 0x3f167918, v35
	v_fmac_f32_e32 v74, 0xbf167918, v35
	;; [unrolled: 1-line block ×5, first 2 shown]
	s_waitcnt vmcnt(1)
	v_mul_f32_e32 v4, v15, v81
	s_waitcnt lgkmcnt(1)
	v_fma_f32 v35, v80, v83, -v4
	v_mul_f32_e32 v4, v9, v79
	s_waitcnt lgkmcnt(0)
	v_fma_f32 v28, v78, v85, -v4
	v_lshlrev_b32_e32 v4, 2, v0
	v_lshlrev_b64 v[62:63], 3, v[4:5]
	v_fmac_f32_e32 v34, 0x3e9e377a, v70
	v_add_co_u32_e32 v4, vcc, s8, v62
	v_addc_co_u32_e32 v59, vcc, v71, v63, vcc
	v_add_co_u32_e32 v62, vcc, s0, v4
	v_addc_co_u32_e32 v63, vcc, 0, v59, vcc
	global_load_dwordx4 v[62:65], v[62:63], off offset:1880
	v_add_co_u32_e32 v66, vcc, s1, v4
	v_addc_co_u32_e32 v67, vcc, 0, v59, vcc
	global_load_dwordx4 v[66:69], v[66:67], off offset:16
	ds_read2_b32 v[70:71], v56 offset0:56 offset1:181
	ds_read2_b32 v[57:58], v58 offset0:74 offset1:199
	v_mul_f32_e32 v83, v83, v81
	v_fmac_f32_e32 v83, v15, v80
	ds_read2_b32 v[80:81], v1 offset1:125
	s_waitcnt vmcnt(2)
	v_mul_f32_e32 v59, v11, v32
	s_waitcnt lgkmcnt(2)
	v_fma_f32 v87, v31, v71, -v59
	v_mul_f32_e32 v56, v13, v30
	s_waitcnt lgkmcnt(1)
	v_mul_f32_e32 v1, v58, v30
	v_add_f32_e32 v15, v28, v87
	v_fma_f32 v56, v29, v58, -v56
	v_fmac_f32_e32 v1, v13, v29
	s_waitcnt lgkmcnt(0)
	v_fma_f32 v29, -0.5, v15, v81
	v_mul_f32_e32 v15, v85, v79
	v_sub_f32_e32 v4, v35, v28
	v_sub_f32_e32 v59, v56, v87
	v_fmac_f32_e32 v15, v9, v78
	v_mul_f32_e32 v9, v71, v32
	v_add_f32_e32 v4, v4, v59
	v_sub_f32_e32 v13, v83, v1
	v_mov_b32_e32 v59, v29
	v_fmac_f32_e32 v9, v11, v31
	v_fmac_f32_e32 v59, 0x3f737871, v13
	v_sub_f32_e32 v11, v15, v9
	v_fmac_f32_e32 v29, 0xbf737871, v13
	v_fmac_f32_e32 v59, 0xbf167918, v11
	;; [unrolled: 1-line block ×5, first 2 shown]
	v_sub_f32_e32 v4, v28, v35
	v_sub_f32_e32 v30, v87, v56
	v_add_f32_e32 v4, v4, v30
	v_add_f32_e32 v30, v35, v56
	v_fma_f32 v31, -0.5, v30, v81
	v_mov_b32_e32 v79, v31
	v_fmac_f32_e32 v79, 0xbf737871, v11
	v_fmac_f32_e32 v31, 0x3f737871, v11
	;; [unrolled: 1-line block ×6, first 2 shown]
	v_add_f32_e32 v4, v28, v81
	v_add_f32_e32 v4, v35, v4
	;; [unrolled: 1-line block ×4, first 2 shown]
	v_sub_f32_e32 v4, v83, v15
	v_sub_f32_e32 v11, v1, v9
	v_add_f32_e32 v13, v15, v9
	v_add_f32_e32 v4, v4, v11
	v_sub_f32_e32 v11, v28, v87
	v_fma_f32 v28, -0.5, v13, v7
	v_sub_f32_e32 v13, v35, v56
	v_mov_b32_e32 v58, v28
	v_fmac_f32_e32 v58, 0xbf737871, v13
	v_fmac_f32_e32 v28, 0x3f737871, v13
	;; [unrolled: 1-line block ×6, first 2 shown]
	v_sub_f32_e32 v4, v15, v83
	v_sub_f32_e32 v30, v9, v1
	v_add_f32_e32 v4, v4, v30
	v_add_f32_e32 v30, v83, v1
	v_fma_f32 v30, -0.5, v30, v7
	v_mov_b32_e32 v78, v30
	v_fmac_f32_e32 v78, 0x3f737871, v11
	v_fmac_f32_e32 v30, 0xbf737871, v11
	;; [unrolled: 1-line block ×6, first 2 shown]
	v_add_f32_e32 v4, v7, v15
	v_add_f32_e32 v4, v83, v4
	;; [unrolled: 1-line block ×4, first 2 shown]
	s_waitcnt vmcnt(1)
	v_mul_f32_e32 v1, v14, v65
	v_mul_f32_e32 v4, v8, v63
	v_fma_f32 v1, v64, v82, -v1
	v_fma_f32 v4, v62, v84, -v4
	s_waitcnt vmcnt(0)
	v_mul_f32_e32 v9, v12, v67
	v_fma_f32 v32, v66, v57, -v9
	v_mul_f32_e32 v9, v10, v69
	v_fma_f32 v35, v68, v70, -v9
	v_sub_f32_e32 v7, v1, v4
	v_sub_f32_e32 v9, v32, v35
	v_add_f32_e32 v7, v7, v9
	v_mul_f32_e32 v56, v82, v65
	v_mul_f32_e32 v57, v57, v67
	v_add_f32_e32 v9, v4, v35
	v_mul_f32_e32 v63, v84, v63
	v_fmac_f32_e32 v56, v14, v64
	v_fmac_f32_e32 v57, v12, v66
	v_fma_f32 v9, -0.5, v9, v80
	v_fmac_f32_e32 v63, v8, v62
	v_mul_f32_e32 v62, v70, v69
	v_sub_f32_e32 v12, v56, v57
	v_mov_b32_e32 v11, v9
	v_fmac_f32_e32 v62, v10, v68
	v_fmac_f32_e32 v11, 0x3f737871, v12
	v_sub_f32_e32 v8, v63, v62
	v_fmac_f32_e32 v9, 0xbf737871, v12
	v_fmac_f32_e32 v11, 0xbf167918, v8
	;; [unrolled: 1-line block ×5, first 2 shown]
	v_sub_f32_e32 v7, v4, v1
	v_sub_f32_e32 v10, v35, v32
	v_add_f32_e32 v7, v7, v10
	v_add_f32_e32 v10, v1, v32
	v_fma_f32 v13, -0.5, v10, v80
	v_mov_b32_e32 v15, v13
	v_fmac_f32_e32 v15, 0xbf737871, v8
	v_fmac_f32_e32 v13, 0x3f737871, v8
	v_sub_f32_e32 v8, v56, v63
	v_sub_f32_e32 v10, v57, v62
	v_fmac_f32_e32 v15, 0xbf167918, v12
	v_fmac_f32_e32 v13, 0x3f167918, v12
	v_add_f32_e32 v12, v8, v10
	v_add_f32_e32 v8, v63, v62
	v_fmac_f32_e32 v15, 0x3e9e377a, v7
	v_fmac_f32_e32 v13, 0x3e9e377a, v7
	v_add_f32_e32 v7, v4, v80
	v_fma_f32 v8, -0.5, v8, v6
	v_add_f32_e32 v7, v1, v7
	v_sub_f32_e32 v1, v1, v32
	v_mov_b32_e32 v10, v8
	v_sub_f32_e32 v4, v4, v35
	v_fmac_f32_e32 v10, 0xbf737871, v1
	v_fmac_f32_e32 v8, 0x3f737871, v1
	;; [unrolled: 1-line block ×6, first 2 shown]
	v_sub_f32_e32 v12, v63, v56
	v_sub_f32_e32 v14, v62, v57
	v_add_f32_e32 v7, v32, v7
	v_add_f32_e32 v32, v12, v14
	;; [unrolled: 1-line block ×3, first 2 shown]
	v_fma_f32 v12, -0.5, v12, v6
	v_mov_b32_e32 v14, v12
	v_fmac_f32_e32 v14, 0x3f737871, v4
	v_fmac_f32_e32 v12, 0xbf737871, v4
	;; [unrolled: 1-line block ×4, first 2 shown]
	v_add_f32_e32 v1, v6, v63
	v_add_f32_e32 v1, v56, v1
	v_add_f32_e32 v1, v1, v57
	v_add_f32_e32 v6, v1, v62
	v_mov_b32_e32 v1, v5
	v_fmac_f32_e32 v14, 0x3e9e377a, v32
	v_fmac_f32_e32 v12, 0x3e9e377a, v32
	v_mov_b32_e32 v4, s3
	v_add_co_u32_e32 v32, vcc, s2, v2
	v_lshlrev_b64 v[0:1], 3, v[0:1]
	v_add_f32_e32 v7, v35, v7
	v_addc_co_u32_e32 v35, vcc, v4, v3, vcc
	v_add_co_u32_e32 v0, vcc, v32, v0
	v_addc_co_u32_e32 v1, vcc, v35, v1, vcc
	v_add_co_u32_e32 v2, vcc, s0, v0
	v_addc_co_u32_e32 v3, vcc, 0, v1, vcc
	s_movk_i32 s1, 0x2000
	global_store_dwordx2 v[0:1], v[6:7], off
	v_add_co_u32_e32 v6, vcc, s1, v0
	v_addc_co_u32_e32 v7, vcc, 0, v1, vcc
	s_movk_i32 s2, 0x4000
	global_store_dwordx2 v[6:7], v[8:9], off offset:3808
	v_add_co_u32_e32 v8, vcc, s2, v0
	v_addc_co_u32_e32 v9, vcc, 0, v1, vcc
	s_movk_i32 s2, 0x5000
	global_store_dwordx2 v[8:9], v[10:11], off offset:1616
	;; [unrolled: 4-line block ×3, first 2 shown]
	v_add_co_u32_e32 v12, vcc, s3, v0
	v_addc_co_u32_e32 v13, vcc, 0, v1, vcc
	global_store_dwordx2 v[10:11], v[14:15], off offset:3520
	global_store_dwordx2 v[0:1], v[85:86], off offset:1000
	;; [unrolled: 1-line block ×3, first 2 shown]
	v_add_co_u32_e32 v14, vcc, s5, v0
	v_addc_co_u32_e32 v15, vcc, 0, v1, vcc
	global_store_dwordx2 v[12:13], v[28:29], off offset:712
	global_store_dwordx2 v[8:9], v[58:59], off offset:2616
	;; [unrolled: 1-line block ×10, first 2 shown]
	v_mul_hi_u32 v2, v61, s6
	global_store_dwordx2 v[12:13], v[48:49], off offset:2712
	global_store_dwordx2 v[10:11], v[46:47], off offset:520
	;; [unrolled: 1-line block ×3, first 2 shown]
	v_lshrrev_b32_e32 v2, 4, v2
	v_mul_u32_u24_e32 v4, 0xbb8, v2
	v_lshlrev_b64 v[2:3], 3, v[4:5]
	v_add_co_u32_e32 v0, vcc, v0, v2
	v_addc_co_u32_e32 v1, vcc, v1, v3, vcc
	v_add_co_u32_e32 v2, vcc, s1, v0
	v_addc_co_u32_e32 v3, vcc, 0, v1, vcc
	global_store_dwordx2 v[2:3], v[42:43], off offset:1808
	v_add_co_u32_e32 v2, vcc, s3, v0
	v_addc_co_u32_e32 v3, vcc, 0, v1, vcc
	global_store_dwordx2 v[2:3], v[40:41], off offset:3712
	;; [unrolled: 3-line block ×3, first 2 shown]
	v_mul_hi_u32 v2, v60, s6
	global_store_dwordx2 v[0:1], v[44:45], off offset:4000
	v_add_co_u32_e32 v0, vcc, s5, v0
	v_addc_co_u32_e32 v1, vcc, 0, v1, vcc
	global_store_dwordx2 v[0:1], v[38:39], off offset:3424
	v_lshrrev_b32_e32 v0, 4, v2
	v_mad_u32_u24 v4, v0, s4, v60
	v_lshlrev_b64 v[0:1], 3, v[4:5]
	v_add_co_u32_e32 v0, vcc, v32, v0
	v_addc_co_u32_e32 v1, vcc, v35, v1, vcc
	v_add_co_u32_e32 v2, vcc, s0, v0
	v_addc_co_u32_e32 v3, vcc, 0, v1, vcc
	global_store_dwordx2 v[2:3], v[24:25], off offset:1904
	v_add_co_u32_e32 v2, vcc, s1, v0
	v_addc_co_u32_e32 v3, vcc, 0, v1, vcc
	global_store_dwordx2 v[2:3], v[22:23], off offset:3808
	v_add_co_u32_e32 v2, vcc, 0x4000, v0
	v_addc_co_u32_e32 v3, vcc, 0, v1, vcc
	global_store_dwordx2 v[0:1], v[26:27], off
	v_add_co_u32_e32 v0, vcc, 0x5000, v0
	v_addc_co_u32_e32 v1, vcc, 0, v1, vcc
	global_store_dwordx2 v[2:3], v[20:21], off offset:1616
	global_store_dwordx2 v[0:1], v[16:17], off offset:3520
.LBB0_13:
	s_endpgm
	.section	.rodata,"a",@progbits
	.p2align	6, 0x0
	.amdhsa_kernel fft_rtc_back_len3750_factors_3_5_5_10_5_wgs_125_tpt_125_halfLds_sp_ip_CI_unitstride_sbrr_dirReg
		.amdhsa_group_segment_fixed_size 0
		.amdhsa_private_segment_fixed_size 0
		.amdhsa_kernarg_size 88
		.amdhsa_user_sgpr_count 6
		.amdhsa_user_sgpr_private_segment_buffer 1
		.amdhsa_user_sgpr_dispatch_ptr 0
		.amdhsa_user_sgpr_queue_ptr 0
		.amdhsa_user_sgpr_kernarg_segment_ptr 1
		.amdhsa_user_sgpr_dispatch_id 0
		.amdhsa_user_sgpr_flat_scratch_init 0
		.amdhsa_user_sgpr_private_segment_size 0
		.amdhsa_uses_dynamic_stack 0
		.amdhsa_system_sgpr_private_segment_wavefront_offset 0
		.amdhsa_system_sgpr_workgroup_id_x 1
		.amdhsa_system_sgpr_workgroup_id_y 0
		.amdhsa_system_sgpr_workgroup_id_z 0
		.amdhsa_system_sgpr_workgroup_info 0
		.amdhsa_system_vgpr_workitem_id 0
		.amdhsa_next_free_vgpr 136
		.amdhsa_next_free_sgpr 22
		.amdhsa_reserve_vcc 1
		.amdhsa_reserve_flat_scratch 0
		.amdhsa_float_round_mode_32 0
		.amdhsa_float_round_mode_16_64 0
		.amdhsa_float_denorm_mode_32 3
		.amdhsa_float_denorm_mode_16_64 3
		.amdhsa_dx10_clamp 1
		.amdhsa_ieee_mode 1
		.amdhsa_fp16_overflow 0
		.amdhsa_exception_fp_ieee_invalid_op 0
		.amdhsa_exception_fp_denorm_src 0
		.amdhsa_exception_fp_ieee_div_zero 0
		.amdhsa_exception_fp_ieee_overflow 0
		.amdhsa_exception_fp_ieee_underflow 0
		.amdhsa_exception_fp_ieee_inexact 0
		.amdhsa_exception_int_div_zero 0
	.end_amdhsa_kernel
	.text
.Lfunc_end0:
	.size	fft_rtc_back_len3750_factors_3_5_5_10_5_wgs_125_tpt_125_halfLds_sp_ip_CI_unitstride_sbrr_dirReg, .Lfunc_end0-fft_rtc_back_len3750_factors_3_5_5_10_5_wgs_125_tpt_125_halfLds_sp_ip_CI_unitstride_sbrr_dirReg
                                        ; -- End function
	.section	.AMDGPU.csdata,"",@progbits
; Kernel info:
; codeLenInByte = 18044
; NumSgprs: 26
; NumVgprs: 136
; ScratchSize: 0
; MemoryBound: 0
; FloatMode: 240
; IeeeMode: 1
; LDSByteSize: 0 bytes/workgroup (compile time only)
; SGPRBlocks: 3
; VGPRBlocks: 33
; NumSGPRsForWavesPerEU: 26
; NumVGPRsForWavesPerEU: 136
; Occupancy: 1
; WaveLimiterHint : 1
; COMPUTE_PGM_RSRC2:SCRATCH_EN: 0
; COMPUTE_PGM_RSRC2:USER_SGPR: 6
; COMPUTE_PGM_RSRC2:TRAP_HANDLER: 0
; COMPUTE_PGM_RSRC2:TGID_X_EN: 1
; COMPUTE_PGM_RSRC2:TGID_Y_EN: 0
; COMPUTE_PGM_RSRC2:TGID_Z_EN: 0
; COMPUTE_PGM_RSRC2:TIDIG_COMP_CNT: 0
	.type	__hip_cuid_9854d9c5f16aa9d1,@object ; @__hip_cuid_9854d9c5f16aa9d1
	.section	.bss,"aw",@nobits
	.globl	__hip_cuid_9854d9c5f16aa9d1
__hip_cuid_9854d9c5f16aa9d1:
	.byte	0                               ; 0x0
	.size	__hip_cuid_9854d9c5f16aa9d1, 1

	.ident	"AMD clang version 19.0.0git (https://github.com/RadeonOpenCompute/llvm-project roc-6.4.0 25133 c7fe45cf4b819c5991fe208aaa96edf142730f1d)"
	.section	".note.GNU-stack","",@progbits
	.addrsig
	.addrsig_sym __hip_cuid_9854d9c5f16aa9d1
	.amdgpu_metadata
---
amdhsa.kernels:
  - .args:
      - .actual_access:  read_only
        .address_space:  global
        .offset:         0
        .size:           8
        .value_kind:     global_buffer
      - .offset:         8
        .size:           8
        .value_kind:     by_value
      - .actual_access:  read_only
        .address_space:  global
        .offset:         16
        .size:           8
        .value_kind:     global_buffer
      - .actual_access:  read_only
        .address_space:  global
        .offset:         24
        .size:           8
        .value_kind:     global_buffer
      - .offset:         32
        .size:           8
        .value_kind:     by_value
      - .actual_access:  read_only
        .address_space:  global
        .offset:         40
        .size:           8
        .value_kind:     global_buffer
      - .actual_access:  read_only
        .address_space:  global
        .offset:         48
        .size:           8
        .value_kind:     global_buffer
      - .offset:         56
        .size:           4
        .value_kind:     by_value
      - .actual_access:  read_only
        .address_space:  global
        .offset:         64
        .size:           8
        .value_kind:     global_buffer
      - .actual_access:  read_only
        .address_space:  global
        .offset:         72
        .size:           8
        .value_kind:     global_buffer
      - .address_space:  global
        .offset:         80
        .size:           8
        .value_kind:     global_buffer
    .group_segment_fixed_size: 0
    .kernarg_segment_align: 8
    .kernarg_segment_size: 88
    .language:       OpenCL C
    .language_version:
      - 2
      - 0
    .max_flat_workgroup_size: 125
    .name:           fft_rtc_back_len3750_factors_3_5_5_10_5_wgs_125_tpt_125_halfLds_sp_ip_CI_unitstride_sbrr_dirReg
    .private_segment_fixed_size: 0
    .sgpr_count:     26
    .sgpr_spill_count: 0
    .symbol:         fft_rtc_back_len3750_factors_3_5_5_10_5_wgs_125_tpt_125_halfLds_sp_ip_CI_unitstride_sbrr_dirReg.kd
    .uniform_work_group_size: 1
    .uses_dynamic_stack: false
    .vgpr_count:     136
    .vgpr_spill_count: 0
    .wavefront_size: 64
amdhsa.target:   amdgcn-amd-amdhsa--gfx906
amdhsa.version:
  - 1
  - 2
...

	.end_amdgpu_metadata
